;; amdgpu-corpus repo=ROCm/rocBLAS kind=compiled arch=gfx906 opt=O3
	.amdgcn_target "amdgcn-amd-amdhsa--gfx906"
	.amdhsa_code_object_version 6
	.section	.text._ZL22rocblas_sscal_2_kernelILi256EDF16_DF16_PKDF16_PDF16_EviT2_lT3_lli,"axG",@progbits,_ZL22rocblas_sscal_2_kernelILi256EDF16_DF16_PKDF16_PDF16_EviT2_lT3_lli,comdat
	.globl	_ZL22rocblas_sscal_2_kernelILi256EDF16_DF16_PKDF16_PDF16_EviT2_lT3_lli ; -- Begin function _ZL22rocblas_sscal_2_kernelILi256EDF16_DF16_PKDF16_PDF16_EviT2_lT3_lli
	.p2align	8
	.type	_ZL22rocblas_sscal_2_kernelILi256EDF16_DF16_PKDF16_PDF16_EviT2_lT3_lli,@function
_ZL22rocblas_sscal_2_kernelILi256EDF16_DF16_PKDF16_PDF16_EviT2_lT3_lli: ; @_ZL22rocblas_sscal_2_kernelILi256EDF16_DF16_PKDF16_PDF16_EviT2_lT3_lli
; %bb.0:
	s_load_dwordx4 s[0:3], s[4:5], 0x8
	v_mov_b32_e32 v1, 0
	s_waitcnt lgkmcnt(0)
	s_mul_i32 s3, s3, s7
	s_mul_hi_u32 s8, s2, s7
	s_add_i32 s3, s8, s3
	s_mul_i32 s2, s2, s7
	s_lshl_b64 s[2:3], s[2:3], 1
	s_add_u32 s0, s0, s2
	s_addc_u32 s1, s1, s3
	global_load_ushort v2, v1, s[0:1]
	s_waitcnt vmcnt(0)
	v_cmp_eq_f16_e32 vcc, 1.0, v2
	s_cbranch_vccnz .LBB0_5
; %bb.1:
	s_load_dwordx4 s[8:11], s[4:5], 0x20
	s_load_dwordx2 s[0:1], s[4:5], 0x18
	s_load_dword s2, s[4:5], 0x0
	v_lshlrev_b32_e32 v0, 1, v0
	v_lshl_or_b32 v0, s6, 9, v0
	s_waitcnt lgkmcnt(0)
	s_mul_i32 s3, s11, s7
	s_mul_hi_u32 s4, s10, s7
	s_add_i32 s5, s4, s3
	s_mul_i32 s4, s10, s7
	s_lshl_b64 s[4:5], s[4:5], 1
	s_add_u32 s3, s0, s4
	s_addc_u32 s4, s1, s5
	s_lshl_b64 s[0:1], s[8:9], 1
	s_add_u32 s3, s3, s0
	v_or_b32_e32 v1, 1, v0
	s_addc_u32 s4, s4, s1
	v_cmp_gt_u32_e32 vcc, s2, v1
	s_and_saveexec_b64 s[0:1], vcc
	s_cbranch_execz .LBB0_3
; %bb.2:
	v_mov_b32_e32 v1, 0
	v_lshlrev_b64 v[3:4], 1, v[0:1]
	v_mov_b32_e32 v1, s4
	v_add_co_u32_e32 v3, vcc, s3, v3
	v_addc_co_u32_e32 v4, vcc, v1, v4, vcc
	global_load_dword v1, v[3:4], off
	s_waitcnt vmcnt(0)
	v_pk_mul_f16 v1, v2, v1 op_sel_hi:[0,1]
	global_store_dword v[3:4], v1, off
.LBB0_3:
	s_or_b64 exec, exec, s[0:1]
	s_bitcmp1_b32 s2, 0
	s_cselect_b64 s[0:1], -1, 0
	s_add_i32 s2, s2, -1
	v_cmp_eq_u32_e32 vcc, s2, v0
	s_and_b64 s[0:1], s[0:1], vcc
	s_and_saveexec_b64 s[6:7], s[0:1]
	s_cbranch_execz .LBB0_5
; %bb.4:
	v_mov_b32_e32 v1, 0
	v_lshlrev_b64 v[0:1], 1, v[0:1]
	v_mov_b32_e32 v3, s4
	v_add_co_u32_e32 v0, vcc, s3, v0
	v_addc_co_u32_e32 v1, vcc, v3, v1, vcc
	global_load_ushort v3, v[0:1], off
	s_waitcnt vmcnt(0)
	v_mul_f16_e32 v2, v2, v3
	global_store_short v[0:1], v2, off
.LBB0_5:
	s_endpgm
	.section	.rodata,"a",@progbits
	.p2align	6, 0x0
	.amdhsa_kernel _ZL22rocblas_sscal_2_kernelILi256EDF16_DF16_PKDF16_PDF16_EviT2_lT3_lli
		.amdhsa_group_segment_fixed_size 0
		.amdhsa_private_segment_fixed_size 0
		.amdhsa_kernarg_size 52
		.amdhsa_user_sgpr_count 6
		.amdhsa_user_sgpr_private_segment_buffer 1
		.amdhsa_user_sgpr_dispatch_ptr 0
		.amdhsa_user_sgpr_queue_ptr 0
		.amdhsa_user_sgpr_kernarg_segment_ptr 1
		.amdhsa_user_sgpr_dispatch_id 0
		.amdhsa_user_sgpr_flat_scratch_init 0
		.amdhsa_user_sgpr_private_segment_size 0
		.amdhsa_uses_dynamic_stack 0
		.amdhsa_system_sgpr_private_segment_wavefront_offset 0
		.amdhsa_system_sgpr_workgroup_id_x 1
		.amdhsa_system_sgpr_workgroup_id_y 0
		.amdhsa_system_sgpr_workgroup_id_z 1
		.amdhsa_system_sgpr_workgroup_info 0
		.amdhsa_system_vgpr_workitem_id 0
		.amdhsa_next_free_vgpr 5
		.amdhsa_next_free_sgpr 12
		.amdhsa_reserve_vcc 1
		.amdhsa_reserve_flat_scratch 0
		.amdhsa_float_round_mode_32 0
		.amdhsa_float_round_mode_16_64 0
		.amdhsa_float_denorm_mode_32 3
		.amdhsa_float_denorm_mode_16_64 3
		.amdhsa_dx10_clamp 1
		.amdhsa_ieee_mode 1
		.amdhsa_fp16_overflow 0
		.amdhsa_exception_fp_ieee_invalid_op 0
		.amdhsa_exception_fp_denorm_src 0
		.amdhsa_exception_fp_ieee_div_zero 0
		.amdhsa_exception_fp_ieee_overflow 0
		.amdhsa_exception_fp_ieee_underflow 0
		.amdhsa_exception_fp_ieee_inexact 0
		.amdhsa_exception_int_div_zero 0
	.end_amdhsa_kernel
	.section	.text._ZL22rocblas_sscal_2_kernelILi256EDF16_DF16_PKDF16_PDF16_EviT2_lT3_lli,"axG",@progbits,_ZL22rocblas_sscal_2_kernelILi256EDF16_DF16_PKDF16_PDF16_EviT2_lT3_lli,comdat
.Lfunc_end0:
	.size	_ZL22rocblas_sscal_2_kernelILi256EDF16_DF16_PKDF16_PDF16_EviT2_lT3_lli, .Lfunc_end0-_ZL22rocblas_sscal_2_kernelILi256EDF16_DF16_PKDF16_PDF16_EviT2_lT3_lli
                                        ; -- End function
	.set _ZL22rocblas_sscal_2_kernelILi256EDF16_DF16_PKDF16_PDF16_EviT2_lT3_lli.num_vgpr, 5
	.set _ZL22rocblas_sscal_2_kernelILi256EDF16_DF16_PKDF16_PDF16_EviT2_lT3_lli.num_agpr, 0
	.set _ZL22rocblas_sscal_2_kernelILi256EDF16_DF16_PKDF16_PDF16_EviT2_lT3_lli.numbered_sgpr, 12
	.set _ZL22rocblas_sscal_2_kernelILi256EDF16_DF16_PKDF16_PDF16_EviT2_lT3_lli.num_named_barrier, 0
	.set _ZL22rocblas_sscal_2_kernelILi256EDF16_DF16_PKDF16_PDF16_EviT2_lT3_lli.private_seg_size, 0
	.set _ZL22rocblas_sscal_2_kernelILi256EDF16_DF16_PKDF16_PDF16_EviT2_lT3_lli.uses_vcc, 1
	.set _ZL22rocblas_sscal_2_kernelILi256EDF16_DF16_PKDF16_PDF16_EviT2_lT3_lli.uses_flat_scratch, 0
	.set _ZL22rocblas_sscal_2_kernelILi256EDF16_DF16_PKDF16_PDF16_EviT2_lT3_lli.has_dyn_sized_stack, 0
	.set _ZL22rocblas_sscal_2_kernelILi256EDF16_DF16_PKDF16_PDF16_EviT2_lT3_lli.has_recursion, 0
	.set _ZL22rocblas_sscal_2_kernelILi256EDF16_DF16_PKDF16_PDF16_EviT2_lT3_lli.has_indirect_call, 0
	.section	.AMDGPU.csdata,"",@progbits
; Kernel info:
; codeLenInByte = 296
; TotalNumSgprs: 16
; NumVgprs: 5
; ScratchSize: 0
; MemoryBound: 0
; FloatMode: 240
; IeeeMode: 1
; LDSByteSize: 0 bytes/workgroup (compile time only)
; SGPRBlocks: 1
; VGPRBlocks: 1
; NumSGPRsForWavesPerEU: 16
; NumVGPRsForWavesPerEU: 5
; Occupancy: 10
; WaveLimiterHint : 0
; COMPUTE_PGM_RSRC2:SCRATCH_EN: 0
; COMPUTE_PGM_RSRC2:USER_SGPR: 6
; COMPUTE_PGM_RSRC2:TRAP_HANDLER: 0
; COMPUTE_PGM_RSRC2:TGID_X_EN: 1
; COMPUTE_PGM_RSRC2:TGID_Y_EN: 0
; COMPUTE_PGM_RSRC2:TGID_Z_EN: 1
; COMPUTE_PGM_RSRC2:TIDIG_COMP_CNT: 0
	.section	.text._ZL22rocblas_sscal_2_kernelILi256EDF16_DF16_DF16_PDF16_EviT2_lT3_lli,"axG",@progbits,_ZL22rocblas_sscal_2_kernelILi256EDF16_DF16_DF16_PDF16_EviT2_lT3_lli,comdat
	.globl	_ZL22rocblas_sscal_2_kernelILi256EDF16_DF16_DF16_PDF16_EviT2_lT3_lli ; -- Begin function _ZL22rocblas_sscal_2_kernelILi256EDF16_DF16_DF16_PDF16_EviT2_lT3_lli
	.p2align	8
	.type	_ZL22rocblas_sscal_2_kernelILi256EDF16_DF16_DF16_PDF16_EviT2_lT3_lli,@function
_ZL22rocblas_sscal_2_kernelILi256EDF16_DF16_DF16_PDF16_EviT2_lT3_lli: ; @_ZL22rocblas_sscal_2_kernelILi256EDF16_DF16_DF16_PDF16_EviT2_lT3_lli
; %bb.0:
	s_load_dwordx2 s[0:1], s[4:5], 0x0
	s_waitcnt lgkmcnt(0)
	v_cmp_eq_f16_e64 s[2:3], s1, 1.0
	s_and_b64 vcc, exec, s[2:3]
	s_cbranch_vccnz .LBB1_5
; %bb.1:
	s_load_dwordx4 s[8:11], s[4:5], 0x18
	s_load_dwordx2 s[2:3], s[4:5], 0x10
	v_lshlrev_b32_e32 v0, 1, v0
	v_lshl_or_b32 v0, s6, 9, v0
	v_or_b32_e32 v1, 1, v0
	s_waitcnt lgkmcnt(0)
	s_mul_i32 s4, s11, s7
	s_mul_hi_u32 s5, s10, s7
	s_add_i32 s5, s5, s4
	s_mul_i32 s4, s10, s7
	s_lshl_b64 s[4:5], s[4:5], 1
	s_add_u32 s4, s2, s4
	s_addc_u32 s5, s3, s5
	s_lshl_b64 s[2:3], s[8:9], 1
	s_add_u32 s4, s4, s2
	s_addc_u32 s5, s5, s3
	v_cmp_gt_u32_e32 vcc, s0, v1
	s_and_saveexec_b64 s[2:3], vcc
	s_cbranch_execz .LBB1_3
; %bb.2:
	v_mov_b32_e32 v1, 0
	v_lshlrev_b64 v[1:2], 1, v[0:1]
	v_mov_b32_e32 v3, s5
	v_add_co_u32_e32 v1, vcc, s4, v1
	v_addc_co_u32_e32 v2, vcc, v3, v2, vcc
	global_load_dword v3, v[1:2], off
	s_waitcnt vmcnt(0)
	v_pk_mul_f16 v3, s1, v3 op_sel_hi:[0,1]
	global_store_dword v[1:2], v3, off
.LBB1_3:
	s_or_b64 exec, exec, s[2:3]
	s_bitcmp1_b32 s0, 0
	s_cselect_b64 s[2:3], -1, 0
	s_add_i32 s0, s0, -1
	v_cmp_eq_u32_e32 vcc, s0, v0
	s_and_b64 s[2:3], s[2:3], vcc
	s_and_saveexec_b64 s[6:7], s[2:3]
	s_cbranch_execz .LBB1_5
; %bb.4:
	v_mov_b32_e32 v1, 0
	v_lshlrev_b64 v[0:1], 1, v[0:1]
	v_mov_b32_e32 v2, s5
	v_add_co_u32_e32 v0, vcc, s4, v0
	v_addc_co_u32_e32 v1, vcc, v2, v1, vcc
	global_load_ushort v2, v[0:1], off
	s_waitcnt vmcnt(0)
	v_mul_f16_e32 v2, s1, v2
	global_store_short v[0:1], v2, off
.LBB1_5:
	s_endpgm
	.section	.rodata,"a",@progbits
	.p2align	6, 0x0
	.amdhsa_kernel _ZL22rocblas_sscal_2_kernelILi256EDF16_DF16_DF16_PDF16_EviT2_lT3_lli
		.amdhsa_group_segment_fixed_size 0
		.amdhsa_private_segment_fixed_size 0
		.amdhsa_kernarg_size 44
		.amdhsa_user_sgpr_count 6
		.amdhsa_user_sgpr_private_segment_buffer 1
		.amdhsa_user_sgpr_dispatch_ptr 0
		.amdhsa_user_sgpr_queue_ptr 0
		.amdhsa_user_sgpr_kernarg_segment_ptr 1
		.amdhsa_user_sgpr_dispatch_id 0
		.amdhsa_user_sgpr_flat_scratch_init 0
		.amdhsa_user_sgpr_private_segment_size 0
		.amdhsa_uses_dynamic_stack 0
		.amdhsa_system_sgpr_private_segment_wavefront_offset 0
		.amdhsa_system_sgpr_workgroup_id_x 1
		.amdhsa_system_sgpr_workgroup_id_y 0
		.amdhsa_system_sgpr_workgroup_id_z 1
		.amdhsa_system_sgpr_workgroup_info 0
		.amdhsa_system_vgpr_workitem_id 0
		.amdhsa_next_free_vgpr 4
		.amdhsa_next_free_sgpr 12
		.amdhsa_reserve_vcc 1
		.amdhsa_reserve_flat_scratch 0
		.amdhsa_float_round_mode_32 0
		.amdhsa_float_round_mode_16_64 0
		.amdhsa_float_denorm_mode_32 3
		.amdhsa_float_denorm_mode_16_64 3
		.amdhsa_dx10_clamp 1
		.amdhsa_ieee_mode 1
		.amdhsa_fp16_overflow 0
		.amdhsa_exception_fp_ieee_invalid_op 0
		.amdhsa_exception_fp_denorm_src 0
		.amdhsa_exception_fp_ieee_div_zero 0
		.amdhsa_exception_fp_ieee_overflow 0
		.amdhsa_exception_fp_ieee_underflow 0
		.amdhsa_exception_fp_ieee_inexact 0
		.amdhsa_exception_int_div_zero 0
	.end_amdhsa_kernel
	.section	.text._ZL22rocblas_sscal_2_kernelILi256EDF16_DF16_DF16_PDF16_EviT2_lT3_lli,"axG",@progbits,_ZL22rocblas_sscal_2_kernelILi256EDF16_DF16_DF16_PDF16_EviT2_lT3_lli,comdat
.Lfunc_end1:
	.size	_ZL22rocblas_sscal_2_kernelILi256EDF16_DF16_DF16_PDF16_EviT2_lT3_lli, .Lfunc_end1-_ZL22rocblas_sscal_2_kernelILi256EDF16_DF16_DF16_PDF16_EviT2_lT3_lli
                                        ; -- End function
	.set _ZL22rocblas_sscal_2_kernelILi256EDF16_DF16_DF16_PDF16_EviT2_lT3_lli.num_vgpr, 4
	.set _ZL22rocblas_sscal_2_kernelILi256EDF16_DF16_DF16_PDF16_EviT2_lT3_lli.num_agpr, 0
	.set _ZL22rocblas_sscal_2_kernelILi256EDF16_DF16_DF16_PDF16_EviT2_lT3_lli.numbered_sgpr, 12
	.set _ZL22rocblas_sscal_2_kernelILi256EDF16_DF16_DF16_PDF16_EviT2_lT3_lli.num_named_barrier, 0
	.set _ZL22rocblas_sscal_2_kernelILi256EDF16_DF16_DF16_PDF16_EviT2_lT3_lli.private_seg_size, 0
	.set _ZL22rocblas_sscal_2_kernelILi256EDF16_DF16_DF16_PDF16_EviT2_lT3_lli.uses_vcc, 1
	.set _ZL22rocblas_sscal_2_kernelILi256EDF16_DF16_DF16_PDF16_EviT2_lT3_lli.uses_flat_scratch, 0
	.set _ZL22rocblas_sscal_2_kernelILi256EDF16_DF16_DF16_PDF16_EviT2_lT3_lli.has_dyn_sized_stack, 0
	.set _ZL22rocblas_sscal_2_kernelILi256EDF16_DF16_DF16_PDF16_EviT2_lT3_lli.has_recursion, 0
	.set _ZL22rocblas_sscal_2_kernelILi256EDF16_DF16_DF16_PDF16_EviT2_lT3_lli.has_indirect_call, 0
	.section	.AMDGPU.csdata,"",@progbits
; Kernel info:
; codeLenInByte = 252
; TotalNumSgprs: 16
; NumVgprs: 4
; ScratchSize: 0
; MemoryBound: 0
; FloatMode: 240
; IeeeMode: 1
; LDSByteSize: 0 bytes/workgroup (compile time only)
; SGPRBlocks: 1
; VGPRBlocks: 0
; NumSGPRsForWavesPerEU: 16
; NumVGPRsForWavesPerEU: 4
; Occupancy: 10
; WaveLimiterHint : 0
; COMPUTE_PGM_RSRC2:SCRATCH_EN: 0
; COMPUTE_PGM_RSRC2:USER_SGPR: 6
; COMPUTE_PGM_RSRC2:TRAP_HANDLER: 0
; COMPUTE_PGM_RSRC2:TGID_X_EN: 1
; COMPUTE_PGM_RSRC2:TGID_Y_EN: 0
; COMPUTE_PGM_RSRC2:TGID_Z_EN: 1
; COMPUTE_PGM_RSRC2:TIDIG_COMP_CNT: 0
	.section	.text._ZL26rocblas_hscal_mlt_4_kernelILi256EPKDF16_PDF16_EviiiT0_lT1_lli,"axG",@progbits,_ZL26rocblas_hscal_mlt_4_kernelILi256EPKDF16_PDF16_EviiiT0_lT1_lli,comdat
	.globl	_ZL26rocblas_hscal_mlt_4_kernelILi256EPKDF16_PDF16_EviiiT0_lT1_lli ; -- Begin function _ZL26rocblas_hscal_mlt_4_kernelILi256EPKDF16_PDF16_EviiiT0_lT1_lli
	.p2align	8
	.type	_ZL26rocblas_hscal_mlt_4_kernelILi256EPKDF16_PDF16_EviiiT0_lT1_lli,@function
_ZL26rocblas_hscal_mlt_4_kernelILi256EPKDF16_PDF16_EviiiT0_lT1_lli: ; @_ZL26rocblas_hscal_mlt_4_kernelILi256EPKDF16_PDF16_EviiiT0_lT1_lli
; %bb.0:
	s_load_dwordx4 s[0:3], s[4:5], 0x10
	v_mov_b32_e32 v1, 0
	s_waitcnt lgkmcnt(0)
	s_mul_i32 s3, s3, s7
	s_mul_hi_u32 s8, s2, s7
	s_add_i32 s3, s8, s3
	s_mul_i32 s2, s2, s7
	s_lshl_b64 s[2:3], s[2:3], 1
	s_add_u32 s0, s0, s2
	s_addc_u32 s1, s1, s3
	global_load_ushort v2, v1, s[0:1]
	s_waitcnt vmcnt(0)
	v_cmp_eq_f16_e32 vcc, 1.0, v2
	s_cbranch_vccnz .LBB2_12
; %bb.1:
	s_load_dwordx2 s[12:13], s[4:5], 0x20
	s_load_dwordx4 s[0:3], s[4:5], 0x0
	s_load_dwordx4 s[8:11], s[4:5], 0x28
	v_lshlrev_b32_e32 v0, 2, v0
	v_lshl_or_b32 v0, s6, 10, v0
	v_or_b32_e32 v1, 3, v0
	s_waitcnt lgkmcnt(0)
	v_cmp_gt_u32_e32 vcc, s0, v1
	s_and_saveexec_b64 s[4:5], vcc
	s_cbranch_execz .LBB2_3
; %bb.2:
	s_mul_i32 s0, s11, s7
	s_mul_hi_u32 s3, s10, s7
	s_add_i32 s15, s3, s0
	s_mul_i32 s14, s10, s7
	s_lshl_b64 s[14:15], s[14:15], 1
	s_add_u32 s0, s12, s14
	v_mov_b32_e32 v1, 0
	s_addc_u32 s3, s13, s15
	s_lshl_b64 s[14:15], s[8:9], 1
	s_add_u32 s0, s0, s14
	v_lshlrev_b64 v[3:4], 1, v[0:1]
	s_addc_u32 s3, s3, s15
	v_mov_b32_e32 v1, s3
	v_add_co_u32_e32 v3, vcc, s0, v3
	v_addc_co_u32_e32 v4, vcc, v1, v4, vcc
	global_load_dwordx2 v[5:6], v[3:4], off
	s_waitcnt vmcnt(0)
	v_pk_mul_f16 v6, v2, v6 op_sel_hi:[0,1]
	v_pk_mul_f16 v5, v2, v5 op_sel_hi:[0,1]
	global_store_dwordx2 v[3:4], v[5:6], off
.LBB2_3:
	s_or_b64 exec, exec, s[4:5]
	s_cmp_lg_u32 s1, 0
	s_cselect_b64 s[4:5], -1, 0
	v_cmp_eq_u32_e32 vcc, s2, v0
	s_and_b64 s[4:5], s[4:5], vcc
	s_and_saveexec_b64 s[14:15], s[4:5]
	s_cbranch_execz .LBB2_12
; %bb.4:
	s_cmp_lt_i32 s1, 1
	s_cbranch_scc1 .LBB2_12
; %bb.5:
	s_mul_i32 s0, s11, s7
	s_mul_hi_u32 s3, s10, s7
	s_add_i32 s5, s3, s0
	s_mul_i32 s4, s10, s7
	s_lshl_b64 s[4:5], s[4:5], 1
	s_add_u32 s0, s12, s4
	s_addc_u32 s6, s13, s5
	s_lshl_b64 s[4:5], s[8:9], 1
	s_add_u32 s3, s0, s4
	s_addc_u32 s6, s6, s5
	s_cmp_lt_u32 s1, 4
	s_cselect_b64 s[4:5], -1, 0
	s_sub_i32 s7, 0, s1
	s_cmp_gt_u32 s2, s7
	s_cselect_b64 s[8:9], -1, 0
	s_or_b64 s[8:9], s[4:5], s[8:9]
	s_mov_b32 s0, 0
	s_mov_b64 s[4:5], -1
	s_and_b64 vcc, exec, s[8:9]
	s_cbranch_vccnz .LBB2_9
; %bb.6:
	s_and_b32 s0, s1, 0x7ffffffe
	v_and_b32_e32 v0, 0xffff, v2
	v_lshl_or_b32 v0, v2, 16, v0
	s_mov_b32 s5, 0
	v_mov_b32_e32 v1, 0
	s_mov_b32 s4, s2
	s_mov_b32 s7, s0
.LBB2_7:                                ; =>This Inner Loop Header: Depth=1
	s_lshl_b64 s[8:9], s[4:5], 1
	s_add_u32 s8, s3, s8
	s_addc_u32 s9, s6, s9
	global_load_dword v3, v1, s[8:9]
	s_add_i32 s7, s7, -2
	s_add_i32 s4, s4, 2
	s_cmp_lg_u32 s7, 0
	s_waitcnt vmcnt(0)
	v_pk_mul_f16 v3, v0, v3
	global_store_dword v1, v3, s[8:9]
	s_cbranch_scc1 .LBB2_7
; %bb.8:
	s_cmp_lg_u32 s1, s0
	s_cselect_b64 s[4:5], -1, 0
.LBB2_9:
	s_and_b64 vcc, exec, s[4:5]
	s_cbranch_vccz .LBB2_12
; %bb.10:
	s_sub_i32 s4, s1, s0
	s_add_i32 s0, s0, s2
	s_mov_b32 s1, 0
	v_mov_b32_e32 v0, 0
.LBB2_11:                               ; =>This Inner Loop Header: Depth=1
	s_lshl_b64 s[8:9], s[0:1], 1
	s_add_u32 s8, s3, s8
	s_addc_u32 s9, s6, s9
	global_load_ushort v1, v0, s[8:9]
	s_add_i32 s4, s4, -1
	s_add_i32 s0, s0, 1
	s_cmp_lg_u32 s4, 0
	s_waitcnt vmcnt(0)
	v_mul_f16_e32 v1, v2, v1
	global_store_short v0, v1, s[8:9]
	s_cbranch_scc1 .LBB2_11
.LBB2_12:
	s_endpgm
	.section	.rodata,"a",@progbits
	.p2align	6, 0x0
	.amdhsa_kernel _ZL26rocblas_hscal_mlt_4_kernelILi256EPKDF16_PDF16_EviiiT0_lT1_lli
		.amdhsa_group_segment_fixed_size 0
		.amdhsa_private_segment_fixed_size 0
		.amdhsa_kernarg_size 60
		.amdhsa_user_sgpr_count 6
		.amdhsa_user_sgpr_private_segment_buffer 1
		.amdhsa_user_sgpr_dispatch_ptr 0
		.amdhsa_user_sgpr_queue_ptr 0
		.amdhsa_user_sgpr_kernarg_segment_ptr 1
		.amdhsa_user_sgpr_dispatch_id 0
		.amdhsa_user_sgpr_flat_scratch_init 0
		.amdhsa_user_sgpr_private_segment_size 0
		.amdhsa_uses_dynamic_stack 0
		.amdhsa_system_sgpr_private_segment_wavefront_offset 0
		.amdhsa_system_sgpr_workgroup_id_x 1
		.amdhsa_system_sgpr_workgroup_id_y 0
		.amdhsa_system_sgpr_workgroup_id_z 1
		.amdhsa_system_sgpr_workgroup_info 0
		.amdhsa_system_vgpr_workitem_id 0
		.amdhsa_next_free_vgpr 7
		.amdhsa_next_free_sgpr 16
		.amdhsa_reserve_vcc 1
		.amdhsa_reserve_flat_scratch 0
		.amdhsa_float_round_mode_32 0
		.amdhsa_float_round_mode_16_64 0
		.amdhsa_float_denorm_mode_32 3
		.amdhsa_float_denorm_mode_16_64 3
		.amdhsa_dx10_clamp 1
		.amdhsa_ieee_mode 1
		.amdhsa_fp16_overflow 0
		.amdhsa_exception_fp_ieee_invalid_op 0
		.amdhsa_exception_fp_denorm_src 0
		.amdhsa_exception_fp_ieee_div_zero 0
		.amdhsa_exception_fp_ieee_overflow 0
		.amdhsa_exception_fp_ieee_underflow 0
		.amdhsa_exception_fp_ieee_inexact 0
		.amdhsa_exception_int_div_zero 0
	.end_amdhsa_kernel
	.section	.text._ZL26rocblas_hscal_mlt_4_kernelILi256EPKDF16_PDF16_EviiiT0_lT1_lli,"axG",@progbits,_ZL26rocblas_hscal_mlt_4_kernelILi256EPKDF16_PDF16_EviiiT0_lT1_lli,comdat
.Lfunc_end2:
	.size	_ZL26rocblas_hscal_mlt_4_kernelILi256EPKDF16_PDF16_EviiiT0_lT1_lli, .Lfunc_end2-_ZL26rocblas_hscal_mlt_4_kernelILi256EPKDF16_PDF16_EviiiT0_lT1_lli
                                        ; -- End function
	.set _ZL26rocblas_hscal_mlt_4_kernelILi256EPKDF16_PDF16_EviiiT0_lT1_lli.num_vgpr, 7
	.set _ZL26rocblas_hscal_mlt_4_kernelILi256EPKDF16_PDF16_EviiiT0_lT1_lli.num_agpr, 0
	.set _ZL26rocblas_hscal_mlt_4_kernelILi256EPKDF16_PDF16_EviiiT0_lT1_lli.numbered_sgpr, 16
	.set _ZL26rocblas_hscal_mlt_4_kernelILi256EPKDF16_PDF16_EviiiT0_lT1_lli.num_named_barrier, 0
	.set _ZL26rocblas_hscal_mlt_4_kernelILi256EPKDF16_PDF16_EviiiT0_lT1_lli.private_seg_size, 0
	.set _ZL26rocblas_hscal_mlt_4_kernelILi256EPKDF16_PDF16_EviiiT0_lT1_lli.uses_vcc, 1
	.set _ZL26rocblas_hscal_mlt_4_kernelILi256EPKDF16_PDF16_EviiiT0_lT1_lli.uses_flat_scratch, 0
	.set _ZL26rocblas_hscal_mlt_4_kernelILi256EPKDF16_PDF16_EviiiT0_lT1_lli.has_dyn_sized_stack, 0
	.set _ZL26rocblas_hscal_mlt_4_kernelILi256EPKDF16_PDF16_EviiiT0_lT1_lli.has_recursion, 0
	.set _ZL26rocblas_hscal_mlt_4_kernelILi256EPKDF16_PDF16_EviiiT0_lT1_lli.has_indirect_call, 0
	.section	.AMDGPU.csdata,"",@progbits
; Kernel info:
; codeLenInByte = 520
; TotalNumSgprs: 20
; NumVgprs: 7
; ScratchSize: 0
; MemoryBound: 0
; FloatMode: 240
; IeeeMode: 1
; LDSByteSize: 0 bytes/workgroup (compile time only)
; SGPRBlocks: 2
; VGPRBlocks: 1
; NumSGPRsForWavesPerEU: 20
; NumVGPRsForWavesPerEU: 7
; Occupancy: 10
; WaveLimiterHint : 0
; COMPUTE_PGM_RSRC2:SCRATCH_EN: 0
; COMPUTE_PGM_RSRC2:USER_SGPR: 6
; COMPUTE_PGM_RSRC2:TRAP_HANDLER: 0
; COMPUTE_PGM_RSRC2:TGID_X_EN: 1
; COMPUTE_PGM_RSRC2:TGID_Y_EN: 0
; COMPUTE_PGM_RSRC2:TGID_Z_EN: 1
; COMPUTE_PGM_RSRC2:TIDIG_COMP_CNT: 0
	.section	.text._ZL26rocblas_hscal_mlt_4_kernelILi256EDF16_PDF16_EviiiT0_lT1_lli,"axG",@progbits,_ZL26rocblas_hscal_mlt_4_kernelILi256EDF16_PDF16_EviiiT0_lT1_lli,comdat
	.globl	_ZL26rocblas_hscal_mlt_4_kernelILi256EDF16_PDF16_EviiiT0_lT1_lli ; -- Begin function _ZL26rocblas_hscal_mlt_4_kernelILi256EDF16_PDF16_EviiiT0_lT1_lli
	.p2align	8
	.type	_ZL26rocblas_hscal_mlt_4_kernelILi256EDF16_PDF16_EviiiT0_lT1_lli,@function
_ZL26rocblas_hscal_mlt_4_kernelILi256EDF16_PDF16_EviiiT0_lT1_lli: ; @_ZL26rocblas_hscal_mlt_4_kernelILi256EDF16_PDF16_EviiiT0_lT1_lli
; %bb.0:
	s_load_dwordx4 s[0:3], s[4:5], 0x0
	s_waitcnt lgkmcnt(0)
	v_cmp_eq_f16_e64 s[8:9], s3, 1.0
	s_and_b64 vcc, exec, s[8:9]
	s_cbranch_vccnz .LBB3_12
; %bb.1:
	s_load_dwordx2 s[12:13], s[4:5], 0x18
	s_load_dwordx4 s[8:11], s[4:5], 0x20
	v_lshlrev_b32_e32 v0, 2, v0
	v_lshl_or_b32 v0, s6, 10, v0
	v_or_b32_e32 v1, 3, v0
	v_cmp_gt_u32_e32 vcc, s0, v1
	s_and_saveexec_b64 s[4:5], vcc
	s_cbranch_execz .LBB3_3
; %bb.2:
	s_waitcnt lgkmcnt(0)
	s_mul_i32 s0, s11, s7
	s_mul_hi_u32 s6, s10, s7
	s_add_i32 s15, s6, s0
	s_mul_i32 s14, s10, s7
	s_lshl_b64 s[14:15], s[14:15], 1
	s_add_u32 s0, s12, s14
	v_mov_b32_e32 v1, 0
	s_addc_u32 s6, s13, s15
	s_lshl_b64 s[14:15], s[8:9], 1
	s_add_u32 s0, s0, s14
	v_lshlrev_b64 v[1:2], 1, v[0:1]
	s_addc_u32 s6, s6, s15
	v_mov_b32_e32 v3, s6
	v_add_co_u32_e32 v1, vcc, s0, v1
	v_addc_co_u32_e32 v2, vcc, v3, v2, vcc
	global_load_dwordx2 v[3:4], v[1:2], off
	s_waitcnt vmcnt(0)
	v_pk_mul_f16 v4, s3, v4 op_sel_hi:[0,1]
	v_pk_mul_f16 v3, s3, v3 op_sel_hi:[0,1]
	global_store_dwordx2 v[1:2], v[3:4], off
.LBB3_3:
	s_or_b64 exec, exec, s[4:5]
	s_cmp_lg_u32 s1, 0
	s_cselect_b64 s[4:5], -1, 0
	v_cmp_eq_u32_e32 vcc, s2, v0
	s_and_b64 s[4:5], s[4:5], vcc
	s_and_saveexec_b64 s[14:15], s[4:5]
	s_cbranch_execz .LBB3_12
; %bb.4:
	s_cmp_lt_i32 s1, 1
	s_cbranch_scc1 .LBB3_12
; %bb.5:
	s_waitcnt lgkmcnt(0)
	s_mul_i32 s0, s11, s7
	s_mul_hi_u32 s4, s10, s7
	s_add_i32 s5, s4, s0
	s_mul_i32 s4, s10, s7
	s_lshl_b64 s[4:5], s[4:5], 1
	s_add_u32 s0, s12, s4
	s_addc_u32 s7, s13, s5
	s_lshl_b64 s[4:5], s[8:9], 1
	s_add_u32 s6, s0, s4
	s_addc_u32 s7, s7, s5
	s_cmp_lt_u32 s1, 4
	s_cselect_b64 s[4:5], -1, 0
	s_sub_i32 s8, 0, s1
	s_cmp_gt_u32 s2, s8
	s_cselect_b64 s[8:9], -1, 0
	s_or_b64 s[8:9], s[4:5], s[8:9]
	s_mov_b32 s0, 0
	s_mov_b64 s[4:5], -1
	s_and_b64 vcc, exec, s[8:9]
	s_cbranch_vccnz .LBB3_9
; %bb.6:
	s_and_b32 s0, s1, 0x7ffffffe
	s_pack_ll_b32_b16 s8, s3, s3
	s_mov_b32 s5, 0
	v_mov_b32_e32 v0, 0
	s_mov_b32 s4, s2
	s_mov_b32 s9, s0
.LBB3_7:                                ; =>This Inner Loop Header: Depth=1
	s_lshl_b64 s[10:11], s[4:5], 1
	s_add_u32 s10, s6, s10
	s_addc_u32 s11, s7, s11
	global_load_dword v1, v0, s[10:11]
	s_add_i32 s9, s9, -2
	s_add_i32 s4, s4, 2
	s_cmp_lg_u32 s9, 0
	s_waitcnt vmcnt(0)
	v_pk_mul_f16 v1, s8, v1
	global_store_dword v0, v1, s[10:11]
	s_cbranch_scc1 .LBB3_7
; %bb.8:
	s_cmp_lg_u32 s1, s0
	s_cselect_b64 s[4:5], -1, 0
.LBB3_9:
	s_and_b64 vcc, exec, s[4:5]
	s_cbranch_vccz .LBB3_12
; %bb.10:
	s_sub_i32 s4, s1, s0
	s_add_i32 s0, s0, s2
	s_mov_b32 s1, 0
	v_mov_b32_e32 v0, 0
.LBB3_11:                               ; =>This Inner Loop Header: Depth=1
	s_lshl_b64 s[8:9], s[0:1], 1
	s_add_u32 s8, s6, s8
	s_addc_u32 s9, s7, s9
	global_load_ushort v1, v0, s[8:9]
	s_add_i32 s4, s4, -1
	s_add_i32 s0, s0, 1
	s_cmp_lg_u32 s4, 0
	s_waitcnt vmcnt(0)
	v_mul_f16_e32 v1, s3, v1
	global_store_short v0, v1, s[8:9]
	s_cbranch_scc1 .LBB3_11
.LBB3_12:
	s_endpgm
	.section	.rodata,"a",@progbits
	.p2align	6, 0x0
	.amdhsa_kernel _ZL26rocblas_hscal_mlt_4_kernelILi256EDF16_PDF16_EviiiT0_lT1_lli
		.amdhsa_group_segment_fixed_size 0
		.amdhsa_private_segment_fixed_size 0
		.amdhsa_kernarg_size 52
		.amdhsa_user_sgpr_count 6
		.amdhsa_user_sgpr_private_segment_buffer 1
		.amdhsa_user_sgpr_dispatch_ptr 0
		.amdhsa_user_sgpr_queue_ptr 0
		.amdhsa_user_sgpr_kernarg_segment_ptr 1
		.amdhsa_user_sgpr_dispatch_id 0
		.amdhsa_user_sgpr_flat_scratch_init 0
		.amdhsa_user_sgpr_private_segment_size 0
		.amdhsa_uses_dynamic_stack 0
		.amdhsa_system_sgpr_private_segment_wavefront_offset 0
		.amdhsa_system_sgpr_workgroup_id_x 1
		.amdhsa_system_sgpr_workgroup_id_y 0
		.amdhsa_system_sgpr_workgroup_id_z 1
		.amdhsa_system_sgpr_workgroup_info 0
		.amdhsa_system_vgpr_workitem_id 0
		.amdhsa_next_free_vgpr 5
		.amdhsa_next_free_sgpr 16
		.amdhsa_reserve_vcc 1
		.amdhsa_reserve_flat_scratch 0
		.amdhsa_float_round_mode_32 0
		.amdhsa_float_round_mode_16_64 0
		.amdhsa_float_denorm_mode_32 3
		.amdhsa_float_denorm_mode_16_64 3
		.amdhsa_dx10_clamp 1
		.amdhsa_ieee_mode 1
		.amdhsa_fp16_overflow 0
		.amdhsa_exception_fp_ieee_invalid_op 0
		.amdhsa_exception_fp_denorm_src 0
		.amdhsa_exception_fp_ieee_div_zero 0
		.amdhsa_exception_fp_ieee_overflow 0
		.amdhsa_exception_fp_ieee_underflow 0
		.amdhsa_exception_fp_ieee_inexact 0
		.amdhsa_exception_int_div_zero 0
	.end_amdhsa_kernel
	.section	.text._ZL26rocblas_hscal_mlt_4_kernelILi256EDF16_PDF16_EviiiT0_lT1_lli,"axG",@progbits,_ZL26rocblas_hscal_mlt_4_kernelILi256EDF16_PDF16_EviiiT0_lT1_lli,comdat
.Lfunc_end3:
	.size	_ZL26rocblas_hscal_mlt_4_kernelILi256EDF16_PDF16_EviiiT0_lT1_lli, .Lfunc_end3-_ZL26rocblas_hscal_mlt_4_kernelILi256EDF16_PDF16_EviiiT0_lT1_lli
                                        ; -- End function
	.set _ZL26rocblas_hscal_mlt_4_kernelILi256EDF16_PDF16_EviiiT0_lT1_lli.num_vgpr, 5
	.set _ZL26rocblas_hscal_mlt_4_kernelILi256EDF16_PDF16_EviiiT0_lT1_lli.num_agpr, 0
	.set _ZL26rocblas_hscal_mlt_4_kernelILi256EDF16_PDF16_EviiiT0_lT1_lli.numbered_sgpr, 16
	.set _ZL26rocblas_hscal_mlt_4_kernelILi256EDF16_PDF16_EviiiT0_lT1_lli.num_named_barrier, 0
	.set _ZL26rocblas_hscal_mlt_4_kernelILi256EDF16_PDF16_EviiiT0_lT1_lli.private_seg_size, 0
	.set _ZL26rocblas_hscal_mlt_4_kernelILi256EDF16_PDF16_EviiiT0_lT1_lli.uses_vcc, 1
	.set _ZL26rocblas_hscal_mlt_4_kernelILi256EDF16_PDF16_EviiiT0_lT1_lli.uses_flat_scratch, 0
	.set _ZL26rocblas_hscal_mlt_4_kernelILi256EDF16_PDF16_EviiiT0_lT1_lli.has_dyn_sized_stack, 0
	.set _ZL26rocblas_hscal_mlt_4_kernelILi256EDF16_PDF16_EviiiT0_lT1_lli.has_recursion, 0
	.set _ZL26rocblas_hscal_mlt_4_kernelILi256EDF16_PDF16_EviiiT0_lT1_lli.has_indirect_call, 0
	.section	.AMDGPU.csdata,"",@progbits
; Kernel info:
; codeLenInByte = 468
; TotalNumSgprs: 20
; NumVgprs: 5
; ScratchSize: 0
; MemoryBound: 0
; FloatMode: 240
; IeeeMode: 1
; LDSByteSize: 0 bytes/workgroup (compile time only)
; SGPRBlocks: 2
; VGPRBlocks: 1
; NumSGPRsForWavesPerEU: 20
; NumVGPRsForWavesPerEU: 5
; Occupancy: 10
; WaveLimiterHint : 0
; COMPUTE_PGM_RSRC2:SCRATCH_EN: 0
; COMPUTE_PGM_RSRC2:USER_SGPR: 6
; COMPUTE_PGM_RSRC2:TRAP_HANDLER: 0
; COMPUTE_PGM_RSRC2:TGID_X_EN: 1
; COMPUTE_PGM_RSRC2:TGID_Y_EN: 0
; COMPUTE_PGM_RSRC2:TGID_Z_EN: 1
; COMPUTE_PGM_RSRC2:TIDIG_COMP_CNT: 0
	.section	.text._ZL19rocblas_scal_kernelIiLi256EDF16_DF16_PKDF16_PDF16_EviT3_lT4_lT_li,"axG",@progbits,_ZL19rocblas_scal_kernelIiLi256EDF16_DF16_PKDF16_PDF16_EviT3_lT4_lT_li,comdat
	.globl	_ZL19rocblas_scal_kernelIiLi256EDF16_DF16_PKDF16_PDF16_EviT3_lT4_lT_li ; -- Begin function _ZL19rocblas_scal_kernelIiLi256EDF16_DF16_PKDF16_PDF16_EviT3_lT4_lT_li
	.p2align	8
	.type	_ZL19rocblas_scal_kernelIiLi256EDF16_DF16_PKDF16_PDF16_EviT3_lT4_lT_li,@function
_ZL19rocblas_scal_kernelIiLi256EDF16_DF16_PKDF16_PDF16_EviT3_lT4_lT_li: ; @_ZL19rocblas_scal_kernelIiLi256EDF16_DF16_PKDF16_PDF16_EviT3_lT4_lT_li
; %bb.0:
	s_load_dwordx8 s[8:15], s[4:5], 0x8
	v_mov_b32_e32 v1, 0
	v_lshl_or_b32 v0, s6, 8, v0
	s_waitcnt lgkmcnt(0)
	s_mul_i32 s0, s11, s7
	s_mul_hi_u32 s1, s10, s7
	s_add_i32 s1, s1, s0
	s_mul_i32 s0, s10, s7
	s_lshl_b64 s[0:1], s[0:1], 1
	s_add_u32 s0, s8, s0
	s_addc_u32 s1, s9, s1
	global_load_ushort v1, v1, s[0:1]
	s_load_dword s0, s[4:5], 0x0
	s_waitcnt lgkmcnt(0)
	v_cmp_gt_u32_e64 s[0:1], s0, v0
	s_waitcnt vmcnt(0)
	v_cmp_neq_f16_e32 vcc, 1.0, v1
	s_and_b64 s[0:1], s[0:1], vcc
	s_and_saveexec_b64 s[2:3], s[0:1]
	s_cbranch_execz .LBB4_2
; %bb.1:
	s_load_dword s2, s[4:5], 0x28
	s_load_dwordx2 s[0:1], s[4:5], 0x30
	s_waitcnt lgkmcnt(0)
	s_ashr_i32 s4, s2, 31
	s_mul_i32 s1, s1, s7
	s_mul_hi_u32 s3, s0, s7
	s_add_i32 s1, s3, s1
	v_mad_u64_u32 v[2:3], s[2:3], s2, v0, 0
	s_mul_i32 s0, s0, s7
	s_lshl_b64 s[0:1], s[0:1], 1
	s_add_u32 s2, s12, s0
	s_addc_u32 s3, s13, s1
	v_mad_u64_u32 v[3:4], s[0:1], s4, v0, v[3:4]
	s_lshl_b64 s[0:1], s[14:15], 1
	s_add_u32 s0, s2, s0
	v_lshlrev_b64 v[2:3], 1, v[2:3]
	s_addc_u32 s1, s3, s1
	v_mov_b32_e32 v0, s1
	v_add_co_u32_e32 v2, vcc, s0, v2
	v_addc_co_u32_e32 v3, vcc, v0, v3, vcc
	global_load_ushort v0, v[2:3], off
	s_waitcnt vmcnt(0)
	v_mul_f16_e32 v0, v1, v0
	global_store_short v[2:3], v0, off
.LBB4_2:
	s_endpgm
	.section	.rodata,"a",@progbits
	.p2align	6, 0x0
	.amdhsa_kernel _ZL19rocblas_scal_kernelIiLi256EDF16_DF16_PKDF16_PDF16_EviT3_lT4_lT_li
		.amdhsa_group_segment_fixed_size 0
		.amdhsa_private_segment_fixed_size 0
		.amdhsa_kernarg_size 60
		.amdhsa_user_sgpr_count 6
		.amdhsa_user_sgpr_private_segment_buffer 1
		.amdhsa_user_sgpr_dispatch_ptr 0
		.amdhsa_user_sgpr_queue_ptr 0
		.amdhsa_user_sgpr_kernarg_segment_ptr 1
		.amdhsa_user_sgpr_dispatch_id 0
		.amdhsa_user_sgpr_flat_scratch_init 0
		.amdhsa_user_sgpr_private_segment_size 0
		.amdhsa_uses_dynamic_stack 0
		.amdhsa_system_sgpr_private_segment_wavefront_offset 0
		.amdhsa_system_sgpr_workgroup_id_x 1
		.amdhsa_system_sgpr_workgroup_id_y 0
		.amdhsa_system_sgpr_workgroup_id_z 1
		.amdhsa_system_sgpr_workgroup_info 0
		.amdhsa_system_vgpr_workitem_id 0
		.amdhsa_next_free_vgpr 5
		.amdhsa_next_free_sgpr 16
		.amdhsa_reserve_vcc 1
		.amdhsa_reserve_flat_scratch 0
		.amdhsa_float_round_mode_32 0
		.amdhsa_float_round_mode_16_64 0
		.amdhsa_float_denorm_mode_32 3
		.amdhsa_float_denorm_mode_16_64 3
		.amdhsa_dx10_clamp 1
		.amdhsa_ieee_mode 1
		.amdhsa_fp16_overflow 0
		.amdhsa_exception_fp_ieee_invalid_op 0
		.amdhsa_exception_fp_denorm_src 0
		.amdhsa_exception_fp_ieee_div_zero 0
		.amdhsa_exception_fp_ieee_overflow 0
		.amdhsa_exception_fp_ieee_underflow 0
		.amdhsa_exception_fp_ieee_inexact 0
		.amdhsa_exception_int_div_zero 0
	.end_amdhsa_kernel
	.section	.text._ZL19rocblas_scal_kernelIiLi256EDF16_DF16_PKDF16_PDF16_EviT3_lT4_lT_li,"axG",@progbits,_ZL19rocblas_scal_kernelIiLi256EDF16_DF16_PKDF16_PDF16_EviT3_lT4_lT_li,comdat
.Lfunc_end4:
	.size	_ZL19rocblas_scal_kernelIiLi256EDF16_DF16_PKDF16_PDF16_EviT3_lT4_lT_li, .Lfunc_end4-_ZL19rocblas_scal_kernelIiLi256EDF16_DF16_PKDF16_PDF16_EviT3_lT4_lT_li
                                        ; -- End function
	.set _ZL19rocblas_scal_kernelIiLi256EDF16_DF16_PKDF16_PDF16_EviT3_lT4_lT_li.num_vgpr, 5
	.set _ZL19rocblas_scal_kernelIiLi256EDF16_DF16_PKDF16_PDF16_EviT3_lT4_lT_li.num_agpr, 0
	.set _ZL19rocblas_scal_kernelIiLi256EDF16_DF16_PKDF16_PDF16_EviT3_lT4_lT_li.numbered_sgpr, 16
	.set _ZL19rocblas_scal_kernelIiLi256EDF16_DF16_PKDF16_PDF16_EviT3_lT4_lT_li.num_named_barrier, 0
	.set _ZL19rocblas_scal_kernelIiLi256EDF16_DF16_PKDF16_PDF16_EviT3_lT4_lT_li.private_seg_size, 0
	.set _ZL19rocblas_scal_kernelIiLi256EDF16_DF16_PKDF16_PDF16_EviT3_lT4_lT_li.uses_vcc, 1
	.set _ZL19rocblas_scal_kernelIiLi256EDF16_DF16_PKDF16_PDF16_EviT3_lT4_lT_li.uses_flat_scratch, 0
	.set _ZL19rocblas_scal_kernelIiLi256EDF16_DF16_PKDF16_PDF16_EviT3_lT4_lT_li.has_dyn_sized_stack, 0
	.set _ZL19rocblas_scal_kernelIiLi256EDF16_DF16_PKDF16_PDF16_EviT3_lT4_lT_li.has_recursion, 0
	.set _ZL19rocblas_scal_kernelIiLi256EDF16_DF16_PKDF16_PDF16_EviT3_lT4_lT_li.has_indirect_call, 0
	.section	.AMDGPU.csdata,"",@progbits
; Kernel info:
; codeLenInByte = 228
; TotalNumSgprs: 20
; NumVgprs: 5
; ScratchSize: 0
; MemoryBound: 0
; FloatMode: 240
; IeeeMode: 1
; LDSByteSize: 0 bytes/workgroup (compile time only)
; SGPRBlocks: 2
; VGPRBlocks: 1
; NumSGPRsForWavesPerEU: 20
; NumVGPRsForWavesPerEU: 5
; Occupancy: 10
; WaveLimiterHint : 0
; COMPUTE_PGM_RSRC2:SCRATCH_EN: 0
; COMPUTE_PGM_RSRC2:USER_SGPR: 6
; COMPUTE_PGM_RSRC2:TRAP_HANDLER: 0
; COMPUTE_PGM_RSRC2:TGID_X_EN: 1
; COMPUTE_PGM_RSRC2:TGID_Y_EN: 0
; COMPUTE_PGM_RSRC2:TGID_Z_EN: 1
; COMPUTE_PGM_RSRC2:TIDIG_COMP_CNT: 0
	.section	.text._ZL19rocblas_scal_kernelIiLi256EDF16_DF16_DF16_PDF16_EviT3_lT4_lT_li,"axG",@progbits,_ZL19rocblas_scal_kernelIiLi256EDF16_DF16_DF16_PDF16_EviT3_lT4_lT_li,comdat
	.globl	_ZL19rocblas_scal_kernelIiLi256EDF16_DF16_DF16_PDF16_EviT3_lT4_lT_li ; -- Begin function _ZL19rocblas_scal_kernelIiLi256EDF16_DF16_DF16_PDF16_EviT3_lT4_lT_li
	.p2align	8
	.type	_ZL19rocblas_scal_kernelIiLi256EDF16_DF16_DF16_PDF16_EviT3_lT4_lT_li,@function
_ZL19rocblas_scal_kernelIiLi256EDF16_DF16_DF16_PDF16_EviT3_lT4_lT_li: ; @_ZL19rocblas_scal_kernelIiLi256EDF16_DF16_DF16_PDF16_EviT3_lT4_lT_li
; %bb.0:
	s_load_dwordx2 s[0:1], s[4:5], 0x0
	v_lshl_or_b32 v0, s6, 8, v0
	s_waitcnt lgkmcnt(0)
	v_cmp_neq_f16_e64 s[2:3], s1, 1.0
	v_cmp_gt_u32_e32 vcc, s0, v0
	s_and_b64 s[2:3], vcc, s[2:3]
	s_and_saveexec_b64 s[8:9], s[2:3]
	s_cbranch_execz .LBB5_2
; %bb.1:
	s_load_dword s0, s[4:5], 0x20
	s_load_dwordx2 s[2:3], s[4:5], 0x28
	s_load_dwordx4 s[8:11], s[4:5], 0x10
	s_waitcnt lgkmcnt(0)
	s_ashr_i32 s6, s0, 31
	s_mul_i32 s3, s3, s7
	s_mul_hi_u32 s4, s2, s7
	s_add_i32 s3, s4, s3
	v_mad_u64_u32 v[1:2], s[4:5], s0, v0, 0
	s_mul_i32 s2, s2, s7
	s_lshl_b64 s[2:3], s[2:3], 1
	s_add_u32 s0, s8, s2
	s_addc_u32 s4, s9, s3
	v_mad_u64_u32 v[2:3], s[2:3], s6, v0, v[2:3]
	s_lshl_b64 s[2:3], s[10:11], 1
	s_add_u32 s0, s0, s2
	v_lshlrev_b64 v[0:1], 1, v[1:2]
	s_addc_u32 s2, s4, s3
	v_mov_b32_e32 v2, s2
	v_add_co_u32_e32 v0, vcc, s0, v0
	v_addc_co_u32_e32 v1, vcc, v2, v1, vcc
	global_load_ushort v2, v[0:1], off
	s_waitcnt vmcnt(0)
	v_mul_f16_e32 v2, s1, v2
	global_store_short v[0:1], v2, off
.LBB5_2:
	s_endpgm
	.section	.rodata,"a",@progbits
	.p2align	6, 0x0
	.amdhsa_kernel _ZL19rocblas_scal_kernelIiLi256EDF16_DF16_DF16_PDF16_EviT3_lT4_lT_li
		.amdhsa_group_segment_fixed_size 0
		.amdhsa_private_segment_fixed_size 0
		.amdhsa_kernarg_size 52
		.amdhsa_user_sgpr_count 6
		.amdhsa_user_sgpr_private_segment_buffer 1
		.amdhsa_user_sgpr_dispatch_ptr 0
		.amdhsa_user_sgpr_queue_ptr 0
		.amdhsa_user_sgpr_kernarg_segment_ptr 1
		.amdhsa_user_sgpr_dispatch_id 0
		.amdhsa_user_sgpr_flat_scratch_init 0
		.amdhsa_user_sgpr_private_segment_size 0
		.amdhsa_uses_dynamic_stack 0
		.amdhsa_system_sgpr_private_segment_wavefront_offset 0
		.amdhsa_system_sgpr_workgroup_id_x 1
		.amdhsa_system_sgpr_workgroup_id_y 0
		.amdhsa_system_sgpr_workgroup_id_z 1
		.amdhsa_system_sgpr_workgroup_info 0
		.amdhsa_system_vgpr_workitem_id 0
		.amdhsa_next_free_vgpr 4
		.amdhsa_next_free_sgpr 12
		.amdhsa_reserve_vcc 1
		.amdhsa_reserve_flat_scratch 0
		.amdhsa_float_round_mode_32 0
		.amdhsa_float_round_mode_16_64 0
		.amdhsa_float_denorm_mode_32 3
		.amdhsa_float_denorm_mode_16_64 3
		.amdhsa_dx10_clamp 1
		.amdhsa_ieee_mode 1
		.amdhsa_fp16_overflow 0
		.amdhsa_exception_fp_ieee_invalid_op 0
		.amdhsa_exception_fp_denorm_src 0
		.amdhsa_exception_fp_ieee_div_zero 0
		.amdhsa_exception_fp_ieee_overflow 0
		.amdhsa_exception_fp_ieee_underflow 0
		.amdhsa_exception_fp_ieee_inexact 0
		.amdhsa_exception_int_div_zero 0
	.end_amdhsa_kernel
	.section	.text._ZL19rocblas_scal_kernelIiLi256EDF16_DF16_DF16_PDF16_EviT3_lT4_lT_li,"axG",@progbits,_ZL19rocblas_scal_kernelIiLi256EDF16_DF16_DF16_PDF16_EviT3_lT4_lT_li,comdat
.Lfunc_end5:
	.size	_ZL19rocblas_scal_kernelIiLi256EDF16_DF16_DF16_PDF16_EviT3_lT4_lT_li, .Lfunc_end5-_ZL19rocblas_scal_kernelIiLi256EDF16_DF16_DF16_PDF16_EviT3_lT4_lT_li
                                        ; -- End function
	.set _ZL19rocblas_scal_kernelIiLi256EDF16_DF16_DF16_PDF16_EviT3_lT4_lT_li.num_vgpr, 4
	.set _ZL19rocblas_scal_kernelIiLi256EDF16_DF16_DF16_PDF16_EviT3_lT4_lT_li.num_agpr, 0
	.set _ZL19rocblas_scal_kernelIiLi256EDF16_DF16_DF16_PDF16_EviT3_lT4_lT_li.numbered_sgpr, 12
	.set _ZL19rocblas_scal_kernelIiLi256EDF16_DF16_DF16_PDF16_EviT3_lT4_lT_li.num_named_barrier, 0
	.set _ZL19rocblas_scal_kernelIiLi256EDF16_DF16_DF16_PDF16_EviT3_lT4_lT_li.private_seg_size, 0
	.set _ZL19rocblas_scal_kernelIiLi256EDF16_DF16_DF16_PDF16_EviT3_lT4_lT_li.uses_vcc, 1
	.set _ZL19rocblas_scal_kernelIiLi256EDF16_DF16_DF16_PDF16_EviT3_lT4_lT_li.uses_flat_scratch, 0
	.set _ZL19rocblas_scal_kernelIiLi256EDF16_DF16_DF16_PDF16_EviT3_lT4_lT_li.has_dyn_sized_stack, 0
	.set _ZL19rocblas_scal_kernelIiLi256EDF16_DF16_DF16_PDF16_EviT3_lT4_lT_li.has_recursion, 0
	.set _ZL19rocblas_scal_kernelIiLi256EDF16_DF16_DF16_PDF16_EviT3_lT4_lT_li.has_indirect_call, 0
	.section	.AMDGPU.csdata,"",@progbits
; Kernel info:
; codeLenInByte = 180
; TotalNumSgprs: 16
; NumVgprs: 4
; ScratchSize: 0
; MemoryBound: 0
; FloatMode: 240
; IeeeMode: 1
; LDSByteSize: 0 bytes/workgroup (compile time only)
; SGPRBlocks: 1
; VGPRBlocks: 0
; NumSGPRsForWavesPerEU: 16
; NumVGPRsForWavesPerEU: 4
; Occupancy: 10
; WaveLimiterHint : 0
; COMPUTE_PGM_RSRC2:SCRATCH_EN: 0
; COMPUTE_PGM_RSRC2:USER_SGPR: 6
; COMPUTE_PGM_RSRC2:TRAP_HANDLER: 0
; COMPUTE_PGM_RSRC2:TGID_X_EN: 1
; COMPUTE_PGM_RSRC2:TGID_Y_EN: 0
; COMPUTE_PGM_RSRC2:TGID_Z_EN: 1
; COMPUTE_PGM_RSRC2:TIDIG_COMP_CNT: 0
	.section	.text._ZL19rocblas_scal_kernelIlLi256EDF16_DF16_PKDF16_PDF16_EviT3_lT4_lT_li,"axG",@progbits,_ZL19rocblas_scal_kernelIlLi256EDF16_DF16_PKDF16_PDF16_EviT3_lT4_lT_li,comdat
	.globl	_ZL19rocblas_scal_kernelIlLi256EDF16_DF16_PKDF16_PDF16_EviT3_lT4_lT_li ; -- Begin function _ZL19rocblas_scal_kernelIlLi256EDF16_DF16_PKDF16_PDF16_EviT3_lT4_lT_li
	.p2align	8
	.type	_ZL19rocblas_scal_kernelIlLi256EDF16_DF16_PKDF16_PDF16_EviT3_lT4_lT_li,@function
_ZL19rocblas_scal_kernelIlLi256EDF16_DF16_PKDF16_PDF16_EviT3_lT4_lT_li: ; @_ZL19rocblas_scal_kernelIlLi256EDF16_DF16_PKDF16_PDF16_EviT3_lT4_lT_li
; %bb.0:
	s_load_dwordx8 s[8:15], s[4:5], 0x8
	v_mov_b32_e32 v1, 0
	v_lshl_or_b32 v0, s6, 8, v0
	s_waitcnt lgkmcnt(0)
	s_mul_i32 s0, s11, s7
	s_mul_hi_u32 s1, s10, s7
	s_add_i32 s1, s1, s0
	s_mul_i32 s0, s10, s7
	s_lshl_b64 s[0:1], s[0:1], 1
	s_add_u32 s0, s8, s0
	s_addc_u32 s1, s9, s1
	global_load_ushort v1, v1, s[0:1]
	s_load_dword s0, s[4:5], 0x0
	s_waitcnt lgkmcnt(0)
	v_cmp_gt_u32_e64 s[0:1], s0, v0
	s_waitcnt vmcnt(0)
	v_cmp_neq_f16_e32 vcc, 1.0, v1
	s_and_b64 s[0:1], s[0:1], vcc
	s_and_saveexec_b64 s[2:3], s[0:1]
	s_cbranch_execz .LBB6_2
; %bb.1:
	s_load_dwordx4 s[0:3], s[4:5], 0x28
	s_waitcnt lgkmcnt(0)
	v_mad_u64_u32 v[2:3], s[4:5], s0, v0, 0
	s_mul_i32 s3, s3, s7
	s_mul_hi_u32 s6, s2, s7
	s_mul_i32 s2, s2, s7
	s_add_i32 s3, s6, s3
	v_mad_u64_u32 v[3:4], s[0:1], s1, v0, v[3:4]
	s_lshl_b64 s[2:3], s[2:3], 1
	s_add_u32 s2, s12, s2
	s_addc_u32 s3, s13, s3
	s_lshl_b64 s[0:1], s[14:15], 1
	s_add_u32 s0, s2, s0
	v_lshlrev_b64 v[2:3], 1, v[2:3]
	s_addc_u32 s1, s3, s1
	v_mov_b32_e32 v0, s1
	v_add_co_u32_e32 v2, vcc, s0, v2
	v_addc_co_u32_e32 v3, vcc, v0, v3, vcc
	global_load_ushort v0, v[2:3], off
	s_waitcnt vmcnt(0)
	v_mul_f16_e32 v0, v1, v0
	global_store_short v[2:3], v0, off
.LBB6_2:
	s_endpgm
	.section	.rodata,"a",@progbits
	.p2align	6, 0x0
	.amdhsa_kernel _ZL19rocblas_scal_kernelIlLi256EDF16_DF16_PKDF16_PDF16_EviT3_lT4_lT_li
		.amdhsa_group_segment_fixed_size 0
		.amdhsa_private_segment_fixed_size 0
		.amdhsa_kernarg_size 60
		.amdhsa_user_sgpr_count 6
		.amdhsa_user_sgpr_private_segment_buffer 1
		.amdhsa_user_sgpr_dispatch_ptr 0
		.amdhsa_user_sgpr_queue_ptr 0
		.amdhsa_user_sgpr_kernarg_segment_ptr 1
		.amdhsa_user_sgpr_dispatch_id 0
		.amdhsa_user_sgpr_flat_scratch_init 0
		.amdhsa_user_sgpr_private_segment_size 0
		.amdhsa_uses_dynamic_stack 0
		.amdhsa_system_sgpr_private_segment_wavefront_offset 0
		.amdhsa_system_sgpr_workgroup_id_x 1
		.amdhsa_system_sgpr_workgroup_id_y 0
		.amdhsa_system_sgpr_workgroup_id_z 1
		.amdhsa_system_sgpr_workgroup_info 0
		.amdhsa_system_vgpr_workitem_id 0
		.amdhsa_next_free_vgpr 5
		.amdhsa_next_free_sgpr 16
		.amdhsa_reserve_vcc 1
		.amdhsa_reserve_flat_scratch 0
		.amdhsa_float_round_mode_32 0
		.amdhsa_float_round_mode_16_64 0
		.amdhsa_float_denorm_mode_32 3
		.amdhsa_float_denorm_mode_16_64 3
		.amdhsa_dx10_clamp 1
		.amdhsa_ieee_mode 1
		.amdhsa_fp16_overflow 0
		.amdhsa_exception_fp_ieee_invalid_op 0
		.amdhsa_exception_fp_denorm_src 0
		.amdhsa_exception_fp_ieee_div_zero 0
		.amdhsa_exception_fp_ieee_overflow 0
		.amdhsa_exception_fp_ieee_underflow 0
		.amdhsa_exception_fp_ieee_inexact 0
		.amdhsa_exception_int_div_zero 0
	.end_amdhsa_kernel
	.section	.text._ZL19rocblas_scal_kernelIlLi256EDF16_DF16_PKDF16_PDF16_EviT3_lT4_lT_li,"axG",@progbits,_ZL19rocblas_scal_kernelIlLi256EDF16_DF16_PKDF16_PDF16_EviT3_lT4_lT_li,comdat
.Lfunc_end6:
	.size	_ZL19rocblas_scal_kernelIlLi256EDF16_DF16_PKDF16_PDF16_EviT3_lT4_lT_li, .Lfunc_end6-_ZL19rocblas_scal_kernelIlLi256EDF16_DF16_PKDF16_PDF16_EviT3_lT4_lT_li
                                        ; -- End function
	.set _ZL19rocblas_scal_kernelIlLi256EDF16_DF16_PKDF16_PDF16_EviT3_lT4_lT_li.num_vgpr, 5
	.set _ZL19rocblas_scal_kernelIlLi256EDF16_DF16_PKDF16_PDF16_EviT3_lT4_lT_li.num_agpr, 0
	.set _ZL19rocblas_scal_kernelIlLi256EDF16_DF16_PKDF16_PDF16_EviT3_lT4_lT_li.numbered_sgpr, 16
	.set _ZL19rocblas_scal_kernelIlLi256EDF16_DF16_PKDF16_PDF16_EviT3_lT4_lT_li.num_named_barrier, 0
	.set _ZL19rocblas_scal_kernelIlLi256EDF16_DF16_PKDF16_PDF16_EviT3_lT4_lT_li.private_seg_size, 0
	.set _ZL19rocblas_scal_kernelIlLi256EDF16_DF16_PKDF16_PDF16_EviT3_lT4_lT_li.uses_vcc, 1
	.set _ZL19rocblas_scal_kernelIlLi256EDF16_DF16_PKDF16_PDF16_EviT3_lT4_lT_li.uses_flat_scratch, 0
	.set _ZL19rocblas_scal_kernelIlLi256EDF16_DF16_PKDF16_PDF16_EviT3_lT4_lT_li.has_dyn_sized_stack, 0
	.set _ZL19rocblas_scal_kernelIlLi256EDF16_DF16_PKDF16_PDF16_EviT3_lT4_lT_li.has_recursion, 0
	.set _ZL19rocblas_scal_kernelIlLi256EDF16_DF16_PKDF16_PDF16_EviT3_lT4_lT_li.has_indirect_call, 0
	.section	.AMDGPU.csdata,"",@progbits
; Kernel info:
; codeLenInByte = 216
; TotalNumSgprs: 20
; NumVgprs: 5
; ScratchSize: 0
; MemoryBound: 0
; FloatMode: 240
; IeeeMode: 1
; LDSByteSize: 0 bytes/workgroup (compile time only)
; SGPRBlocks: 2
; VGPRBlocks: 1
; NumSGPRsForWavesPerEU: 20
; NumVGPRsForWavesPerEU: 5
; Occupancy: 10
; WaveLimiterHint : 0
; COMPUTE_PGM_RSRC2:SCRATCH_EN: 0
; COMPUTE_PGM_RSRC2:USER_SGPR: 6
; COMPUTE_PGM_RSRC2:TRAP_HANDLER: 0
; COMPUTE_PGM_RSRC2:TGID_X_EN: 1
; COMPUTE_PGM_RSRC2:TGID_Y_EN: 0
; COMPUTE_PGM_RSRC2:TGID_Z_EN: 1
; COMPUTE_PGM_RSRC2:TIDIG_COMP_CNT: 0
	.section	.text._ZL19rocblas_scal_kernelIlLi256EDF16_DF16_DF16_PDF16_EviT3_lT4_lT_li,"axG",@progbits,_ZL19rocblas_scal_kernelIlLi256EDF16_DF16_DF16_PDF16_EviT3_lT4_lT_li,comdat
	.globl	_ZL19rocblas_scal_kernelIlLi256EDF16_DF16_DF16_PDF16_EviT3_lT4_lT_li ; -- Begin function _ZL19rocblas_scal_kernelIlLi256EDF16_DF16_DF16_PDF16_EviT3_lT4_lT_li
	.p2align	8
	.type	_ZL19rocblas_scal_kernelIlLi256EDF16_DF16_DF16_PDF16_EviT3_lT4_lT_li,@function
_ZL19rocblas_scal_kernelIlLi256EDF16_DF16_DF16_PDF16_EviT3_lT4_lT_li: ; @_ZL19rocblas_scal_kernelIlLi256EDF16_DF16_DF16_PDF16_EviT3_lT4_lT_li
; %bb.0:
	s_load_dwordx2 s[0:1], s[4:5], 0x0
	v_lshl_or_b32 v0, s6, 8, v0
	s_waitcnt lgkmcnt(0)
	v_cmp_neq_f16_e64 s[2:3], s1, 1.0
	v_cmp_gt_u32_e32 vcc, s0, v0
	s_and_b64 s[2:3], vcc, s[2:3]
	s_and_saveexec_b64 s[8:9], s[2:3]
	s_cbranch_execz .LBB7_2
; %bb.1:
	s_load_dwordx8 s[8:15], s[4:5], 0x10
	s_waitcnt lgkmcnt(0)
	s_mul_i32 s0, s15, s7
	s_mul_hi_u32 s3, s14, s7
	v_mad_u64_u32 v[1:2], s[4:5], s12, v0, 0
	s_mul_i32 s2, s14, s7
	s_add_i32 s3, s3, s0
	s_lshl_b64 s[2:3], s[2:3], 1
	s_add_u32 s0, s8, s2
	s_addc_u32 s4, s9, s3
	v_mad_u64_u32 v[2:3], s[2:3], s13, v0, v[2:3]
	s_lshl_b64 s[2:3], s[10:11], 1
	s_add_u32 s0, s0, s2
	v_lshlrev_b64 v[0:1], 1, v[1:2]
	s_addc_u32 s2, s4, s3
	v_mov_b32_e32 v2, s2
	v_add_co_u32_e32 v0, vcc, s0, v0
	v_addc_co_u32_e32 v1, vcc, v2, v1, vcc
	global_load_ushort v2, v[0:1], off
	s_waitcnt vmcnt(0)
	v_mul_f16_e32 v2, s1, v2
	global_store_short v[0:1], v2, off
.LBB7_2:
	s_endpgm
	.section	.rodata,"a",@progbits
	.p2align	6, 0x0
	.amdhsa_kernel _ZL19rocblas_scal_kernelIlLi256EDF16_DF16_DF16_PDF16_EviT3_lT4_lT_li
		.amdhsa_group_segment_fixed_size 0
		.amdhsa_private_segment_fixed_size 0
		.amdhsa_kernarg_size 52
		.amdhsa_user_sgpr_count 6
		.amdhsa_user_sgpr_private_segment_buffer 1
		.amdhsa_user_sgpr_dispatch_ptr 0
		.amdhsa_user_sgpr_queue_ptr 0
		.amdhsa_user_sgpr_kernarg_segment_ptr 1
		.amdhsa_user_sgpr_dispatch_id 0
		.amdhsa_user_sgpr_flat_scratch_init 0
		.amdhsa_user_sgpr_private_segment_size 0
		.amdhsa_uses_dynamic_stack 0
		.amdhsa_system_sgpr_private_segment_wavefront_offset 0
		.amdhsa_system_sgpr_workgroup_id_x 1
		.amdhsa_system_sgpr_workgroup_id_y 0
		.amdhsa_system_sgpr_workgroup_id_z 1
		.amdhsa_system_sgpr_workgroup_info 0
		.amdhsa_system_vgpr_workitem_id 0
		.amdhsa_next_free_vgpr 4
		.amdhsa_next_free_sgpr 16
		.amdhsa_reserve_vcc 1
		.amdhsa_reserve_flat_scratch 0
		.amdhsa_float_round_mode_32 0
		.amdhsa_float_round_mode_16_64 0
		.amdhsa_float_denorm_mode_32 3
		.amdhsa_float_denorm_mode_16_64 3
		.amdhsa_dx10_clamp 1
		.amdhsa_ieee_mode 1
		.amdhsa_fp16_overflow 0
		.amdhsa_exception_fp_ieee_invalid_op 0
		.amdhsa_exception_fp_denorm_src 0
		.amdhsa_exception_fp_ieee_div_zero 0
		.amdhsa_exception_fp_ieee_overflow 0
		.amdhsa_exception_fp_ieee_underflow 0
		.amdhsa_exception_fp_ieee_inexact 0
		.amdhsa_exception_int_div_zero 0
	.end_amdhsa_kernel
	.section	.text._ZL19rocblas_scal_kernelIlLi256EDF16_DF16_DF16_PDF16_EviT3_lT4_lT_li,"axG",@progbits,_ZL19rocblas_scal_kernelIlLi256EDF16_DF16_DF16_PDF16_EviT3_lT4_lT_li,comdat
.Lfunc_end7:
	.size	_ZL19rocblas_scal_kernelIlLi256EDF16_DF16_DF16_PDF16_EviT3_lT4_lT_li, .Lfunc_end7-_ZL19rocblas_scal_kernelIlLi256EDF16_DF16_DF16_PDF16_EviT3_lT4_lT_li
                                        ; -- End function
	.set _ZL19rocblas_scal_kernelIlLi256EDF16_DF16_DF16_PDF16_EviT3_lT4_lT_li.num_vgpr, 4
	.set _ZL19rocblas_scal_kernelIlLi256EDF16_DF16_DF16_PDF16_EviT3_lT4_lT_li.num_agpr, 0
	.set _ZL19rocblas_scal_kernelIlLi256EDF16_DF16_DF16_PDF16_EviT3_lT4_lT_li.numbered_sgpr, 16
	.set _ZL19rocblas_scal_kernelIlLi256EDF16_DF16_DF16_PDF16_EviT3_lT4_lT_li.num_named_barrier, 0
	.set _ZL19rocblas_scal_kernelIlLi256EDF16_DF16_DF16_PDF16_EviT3_lT4_lT_li.private_seg_size, 0
	.set _ZL19rocblas_scal_kernelIlLi256EDF16_DF16_DF16_PDF16_EviT3_lT4_lT_li.uses_vcc, 1
	.set _ZL19rocblas_scal_kernelIlLi256EDF16_DF16_DF16_PDF16_EviT3_lT4_lT_li.uses_flat_scratch, 0
	.set _ZL19rocblas_scal_kernelIlLi256EDF16_DF16_DF16_PDF16_EviT3_lT4_lT_li.has_dyn_sized_stack, 0
	.set _ZL19rocblas_scal_kernelIlLi256EDF16_DF16_DF16_PDF16_EviT3_lT4_lT_li.has_recursion, 0
	.set _ZL19rocblas_scal_kernelIlLi256EDF16_DF16_DF16_PDF16_EviT3_lT4_lT_li.has_indirect_call, 0
	.section	.AMDGPU.csdata,"",@progbits
; Kernel info:
; codeLenInByte = 160
; TotalNumSgprs: 20
; NumVgprs: 4
; ScratchSize: 0
; MemoryBound: 0
; FloatMode: 240
; IeeeMode: 1
; LDSByteSize: 0 bytes/workgroup (compile time only)
; SGPRBlocks: 2
; VGPRBlocks: 0
; NumSGPRsForWavesPerEU: 20
; NumVGPRsForWavesPerEU: 4
; Occupancy: 10
; WaveLimiterHint : 0
; COMPUTE_PGM_RSRC2:SCRATCH_EN: 0
; COMPUTE_PGM_RSRC2:USER_SGPR: 6
; COMPUTE_PGM_RSRC2:TRAP_HANDLER: 0
; COMPUTE_PGM_RSRC2:TGID_X_EN: 1
; COMPUTE_PGM_RSRC2:TGID_Y_EN: 0
; COMPUTE_PGM_RSRC2:TGID_Z_EN: 1
; COMPUTE_PGM_RSRC2:TIDIG_COMP_CNT: 0
	.section	.text._ZL22rocblas_sscal_2_kernelILi256EDF16_DF16_PKfPDF16_EviT2_lT3_lli,"axG",@progbits,_ZL22rocblas_sscal_2_kernelILi256EDF16_DF16_PKfPDF16_EviT2_lT3_lli,comdat
	.globl	_ZL22rocblas_sscal_2_kernelILi256EDF16_DF16_PKfPDF16_EviT2_lT3_lli ; -- Begin function _ZL22rocblas_sscal_2_kernelILi256EDF16_DF16_PKfPDF16_EviT2_lT3_lli
	.p2align	8
	.type	_ZL22rocblas_sscal_2_kernelILi256EDF16_DF16_PKfPDF16_EviT2_lT3_lli,@function
_ZL22rocblas_sscal_2_kernelILi256EDF16_DF16_PKfPDF16_EviT2_lT3_lli: ; @_ZL22rocblas_sscal_2_kernelILi256EDF16_DF16_PKfPDF16_EviT2_lT3_lli
; %bb.0:
	s_load_dwordx4 s[0:3], s[4:5], 0x8
	s_waitcnt lgkmcnt(0)
	s_mul_i32 s3, s3, s7
	s_mul_hi_u32 s8, s2, s7
	s_add_i32 s3, s8, s3
	s_mul_i32 s2, s2, s7
	s_lshl_b64 s[2:3], s[2:3], 2
	s_add_u32 s0, s0, s2
	s_addc_u32 s1, s1, s3
	s_load_dword s2, s[0:1], 0x0
	s_waitcnt lgkmcnt(0)
	v_cmp_eq_f32_e64 s[0:1], s2, 1.0
	s_and_b64 vcc, exec, s[0:1]
	s_cbranch_vccnz .LBB8_5
; %bb.1:
	s_load_dwordx4 s[8:11], s[4:5], 0x20
	s_load_dwordx2 s[0:1], s[4:5], 0x18
	s_load_dword s3, s[4:5], 0x0
	v_lshlrev_b32_e32 v0, 1, v0
	v_lshl_or_b32 v0, s6, 9, v0
	s_waitcnt lgkmcnt(0)
	s_mul_i32 s4, s11, s7
	s_mul_hi_u32 s5, s10, s7
	s_add_i32 s5, s5, s4
	s_mul_i32 s4, s10, s7
	s_lshl_b64 s[4:5], s[4:5], 1
	s_add_u32 s4, s0, s4
	s_addc_u32 s5, s1, s5
	s_lshl_b64 s[0:1], s[8:9], 1
	s_add_u32 s4, s4, s0
	v_or_b32_e32 v1, 1, v0
	s_addc_u32 s5, s5, s1
	v_cmp_gt_u32_e32 vcc, s3, v1
	s_and_saveexec_b64 s[0:1], vcc
	s_cbranch_execz .LBB8_3
; %bb.2:
	v_mov_b32_e32 v1, 0
	v_lshlrev_b64 v[1:2], 1, v[0:1]
	v_mov_b32_e32 v3, s5
	v_add_co_u32_e32 v1, vcc, s4, v1
	v_addc_co_u32_e32 v2, vcc, v3, v2, vcc
	global_load_dword v3, v[1:2], off
	s_waitcnt vmcnt(0)
	v_fma_mixlo_f16 v4, s2, v3, 0 op_sel_hi:[0,1,0]
	v_fma_mixhi_f16 v4, s2, v3, 0 op_sel:[0,1,0] op_sel_hi:[0,1,0]
	global_store_dword v[1:2], v4, off
.LBB8_3:
	s_or_b64 exec, exec, s[0:1]
	s_bitcmp1_b32 s3, 0
	s_cselect_b64 s[0:1], -1, 0
	s_add_i32 s3, s3, -1
	v_cmp_eq_u32_e32 vcc, s3, v0
	s_and_b64 s[0:1], s[0:1], vcc
	s_and_saveexec_b64 s[6:7], s[0:1]
	s_cbranch_execz .LBB8_5
; %bb.4:
	v_mov_b32_e32 v1, 0
	v_lshlrev_b64 v[0:1], 1, v[0:1]
	v_mov_b32_e32 v2, s5
	v_add_co_u32_e32 v0, vcc, s4, v0
	v_addc_co_u32_e32 v1, vcc, v2, v1, vcc
	global_load_ushort v2, v[0:1], off
	s_waitcnt vmcnt(0)
	v_fma_mixlo_f16 v2, s2, v2, 0 op_sel_hi:[0,1,0]
	global_store_short v[0:1], v2, off
.LBB8_5:
	s_endpgm
	.section	.rodata,"a",@progbits
	.p2align	6, 0x0
	.amdhsa_kernel _ZL22rocblas_sscal_2_kernelILi256EDF16_DF16_PKfPDF16_EviT2_lT3_lli
		.amdhsa_group_segment_fixed_size 0
		.amdhsa_private_segment_fixed_size 0
		.amdhsa_kernarg_size 52
		.amdhsa_user_sgpr_count 6
		.amdhsa_user_sgpr_private_segment_buffer 1
		.amdhsa_user_sgpr_dispatch_ptr 0
		.amdhsa_user_sgpr_queue_ptr 0
		.amdhsa_user_sgpr_kernarg_segment_ptr 1
		.amdhsa_user_sgpr_dispatch_id 0
		.amdhsa_user_sgpr_flat_scratch_init 0
		.amdhsa_user_sgpr_private_segment_size 0
		.amdhsa_uses_dynamic_stack 0
		.amdhsa_system_sgpr_private_segment_wavefront_offset 0
		.amdhsa_system_sgpr_workgroup_id_x 1
		.amdhsa_system_sgpr_workgroup_id_y 0
		.amdhsa_system_sgpr_workgroup_id_z 1
		.amdhsa_system_sgpr_workgroup_info 0
		.amdhsa_system_vgpr_workitem_id 0
		.amdhsa_next_free_vgpr 5
		.amdhsa_next_free_sgpr 12
		.amdhsa_reserve_vcc 1
		.amdhsa_reserve_flat_scratch 0
		.amdhsa_float_round_mode_32 0
		.amdhsa_float_round_mode_16_64 0
		.amdhsa_float_denorm_mode_32 3
		.amdhsa_float_denorm_mode_16_64 3
		.amdhsa_dx10_clamp 1
		.amdhsa_ieee_mode 1
		.amdhsa_fp16_overflow 0
		.amdhsa_exception_fp_ieee_invalid_op 0
		.amdhsa_exception_fp_denorm_src 0
		.amdhsa_exception_fp_ieee_div_zero 0
		.amdhsa_exception_fp_ieee_overflow 0
		.amdhsa_exception_fp_ieee_underflow 0
		.amdhsa_exception_fp_ieee_inexact 0
		.amdhsa_exception_int_div_zero 0
	.end_amdhsa_kernel
	.section	.text._ZL22rocblas_sscal_2_kernelILi256EDF16_DF16_PKfPDF16_EviT2_lT3_lli,"axG",@progbits,_ZL22rocblas_sscal_2_kernelILi256EDF16_DF16_PKfPDF16_EviT2_lT3_lli,comdat
.Lfunc_end8:
	.size	_ZL22rocblas_sscal_2_kernelILi256EDF16_DF16_PKfPDF16_EviT2_lT3_lli, .Lfunc_end8-_ZL22rocblas_sscal_2_kernelILi256EDF16_DF16_PKfPDF16_EviT2_lT3_lli
                                        ; -- End function
	.set _ZL22rocblas_sscal_2_kernelILi256EDF16_DF16_PKfPDF16_EviT2_lT3_lli.num_vgpr, 5
	.set _ZL22rocblas_sscal_2_kernelILi256EDF16_DF16_PKfPDF16_EviT2_lT3_lli.num_agpr, 0
	.set _ZL22rocblas_sscal_2_kernelILi256EDF16_DF16_PKfPDF16_EviT2_lT3_lli.numbered_sgpr, 12
	.set _ZL22rocblas_sscal_2_kernelILi256EDF16_DF16_PKfPDF16_EviT2_lT3_lli.num_named_barrier, 0
	.set _ZL22rocblas_sscal_2_kernelILi256EDF16_DF16_PKfPDF16_EviT2_lT3_lli.private_seg_size, 0
	.set _ZL22rocblas_sscal_2_kernelILi256EDF16_DF16_PKfPDF16_EviT2_lT3_lli.uses_vcc, 1
	.set _ZL22rocblas_sscal_2_kernelILi256EDF16_DF16_PKfPDF16_EviT2_lT3_lli.uses_flat_scratch, 0
	.set _ZL22rocblas_sscal_2_kernelILi256EDF16_DF16_PKfPDF16_EviT2_lT3_lli.has_dyn_sized_stack, 0
	.set _ZL22rocblas_sscal_2_kernelILi256EDF16_DF16_PKfPDF16_EviT2_lT3_lli.has_recursion, 0
	.set _ZL22rocblas_sscal_2_kernelILi256EDF16_DF16_PKfPDF16_EviT2_lT3_lli.has_indirect_call, 0
	.section	.AMDGPU.csdata,"",@progbits
; Kernel info:
; codeLenInByte = 312
; TotalNumSgprs: 16
; NumVgprs: 5
; ScratchSize: 0
; MemoryBound: 0
; FloatMode: 240
; IeeeMode: 1
; LDSByteSize: 0 bytes/workgroup (compile time only)
; SGPRBlocks: 1
; VGPRBlocks: 1
; NumSGPRsForWavesPerEU: 16
; NumVGPRsForWavesPerEU: 5
; Occupancy: 10
; WaveLimiterHint : 0
; COMPUTE_PGM_RSRC2:SCRATCH_EN: 0
; COMPUTE_PGM_RSRC2:USER_SGPR: 6
; COMPUTE_PGM_RSRC2:TRAP_HANDLER: 0
; COMPUTE_PGM_RSRC2:TGID_X_EN: 1
; COMPUTE_PGM_RSRC2:TGID_Y_EN: 0
; COMPUTE_PGM_RSRC2:TGID_Z_EN: 1
; COMPUTE_PGM_RSRC2:TIDIG_COMP_CNT: 0
	.section	.text._ZL22rocblas_sscal_2_kernelILi256EDF16_DF16_fPDF16_EviT2_lT3_lli,"axG",@progbits,_ZL22rocblas_sscal_2_kernelILi256EDF16_DF16_fPDF16_EviT2_lT3_lli,comdat
	.globl	_ZL22rocblas_sscal_2_kernelILi256EDF16_DF16_fPDF16_EviT2_lT3_lli ; -- Begin function _ZL22rocblas_sscal_2_kernelILi256EDF16_DF16_fPDF16_EviT2_lT3_lli
	.p2align	8
	.type	_ZL22rocblas_sscal_2_kernelILi256EDF16_DF16_fPDF16_EviT2_lT3_lli,@function
_ZL22rocblas_sscal_2_kernelILi256EDF16_DF16_fPDF16_EviT2_lT3_lli: ; @_ZL22rocblas_sscal_2_kernelILi256EDF16_DF16_fPDF16_EviT2_lT3_lli
; %bb.0:
	s_load_dwordx2 s[0:1], s[4:5], 0x0
	s_waitcnt lgkmcnt(0)
	v_cmp_eq_f32_e64 s[2:3], s1, 1.0
	s_and_b64 vcc, exec, s[2:3]
	s_cbranch_vccnz .LBB9_5
; %bb.1:
	s_load_dwordx4 s[8:11], s[4:5], 0x18
	s_load_dwordx2 s[2:3], s[4:5], 0x10
	v_lshlrev_b32_e32 v0, 1, v0
	v_lshl_or_b32 v0, s6, 9, v0
	v_or_b32_e32 v1, 1, v0
	s_waitcnt lgkmcnt(0)
	s_mul_i32 s4, s11, s7
	s_mul_hi_u32 s5, s10, s7
	s_add_i32 s5, s5, s4
	s_mul_i32 s4, s10, s7
	s_lshl_b64 s[4:5], s[4:5], 1
	s_add_u32 s4, s2, s4
	s_addc_u32 s5, s3, s5
	s_lshl_b64 s[2:3], s[8:9], 1
	s_add_u32 s4, s4, s2
	s_addc_u32 s5, s5, s3
	v_cmp_gt_u32_e32 vcc, s0, v1
	s_and_saveexec_b64 s[2:3], vcc
	s_cbranch_execz .LBB9_3
; %bb.2:
	v_mov_b32_e32 v1, 0
	v_lshlrev_b64 v[1:2], 1, v[0:1]
	v_mov_b32_e32 v3, s5
	v_add_co_u32_e32 v1, vcc, s4, v1
	v_addc_co_u32_e32 v2, vcc, v3, v2, vcc
	global_load_dword v3, v[1:2], off
	s_waitcnt vmcnt(0)
	v_fma_mixlo_f16 v4, s1, v3, 0 op_sel_hi:[0,1,0]
	v_fma_mixhi_f16 v4, s1, v3, 0 op_sel:[0,1,0] op_sel_hi:[0,1,0]
	global_store_dword v[1:2], v4, off
.LBB9_3:
	s_or_b64 exec, exec, s[2:3]
	s_bitcmp1_b32 s0, 0
	s_cselect_b64 s[2:3], -1, 0
	s_add_i32 s0, s0, -1
	v_cmp_eq_u32_e32 vcc, s0, v0
	s_and_b64 s[2:3], s[2:3], vcc
	s_and_saveexec_b64 s[6:7], s[2:3]
	s_cbranch_execz .LBB9_5
; %bb.4:
	v_mov_b32_e32 v1, 0
	v_lshlrev_b64 v[0:1], 1, v[0:1]
	v_mov_b32_e32 v2, s5
	v_add_co_u32_e32 v0, vcc, s4, v0
	v_addc_co_u32_e32 v1, vcc, v2, v1, vcc
	global_load_ushort v2, v[0:1], off
	s_waitcnt vmcnt(0)
	v_fma_mixlo_f16 v2, s1, v2, 0 op_sel_hi:[0,1,0]
	global_store_short v[0:1], v2, off
.LBB9_5:
	s_endpgm
	.section	.rodata,"a",@progbits
	.p2align	6, 0x0
	.amdhsa_kernel _ZL22rocblas_sscal_2_kernelILi256EDF16_DF16_fPDF16_EviT2_lT3_lli
		.amdhsa_group_segment_fixed_size 0
		.amdhsa_private_segment_fixed_size 0
		.amdhsa_kernarg_size 44
		.amdhsa_user_sgpr_count 6
		.amdhsa_user_sgpr_private_segment_buffer 1
		.amdhsa_user_sgpr_dispatch_ptr 0
		.amdhsa_user_sgpr_queue_ptr 0
		.amdhsa_user_sgpr_kernarg_segment_ptr 1
		.amdhsa_user_sgpr_dispatch_id 0
		.amdhsa_user_sgpr_flat_scratch_init 0
		.amdhsa_user_sgpr_private_segment_size 0
		.amdhsa_uses_dynamic_stack 0
		.amdhsa_system_sgpr_private_segment_wavefront_offset 0
		.amdhsa_system_sgpr_workgroup_id_x 1
		.amdhsa_system_sgpr_workgroup_id_y 0
		.amdhsa_system_sgpr_workgroup_id_z 1
		.amdhsa_system_sgpr_workgroup_info 0
		.amdhsa_system_vgpr_workitem_id 0
		.amdhsa_next_free_vgpr 5
		.amdhsa_next_free_sgpr 12
		.amdhsa_reserve_vcc 1
		.amdhsa_reserve_flat_scratch 0
		.amdhsa_float_round_mode_32 0
		.amdhsa_float_round_mode_16_64 0
		.amdhsa_float_denorm_mode_32 3
		.amdhsa_float_denorm_mode_16_64 3
		.amdhsa_dx10_clamp 1
		.amdhsa_ieee_mode 1
		.amdhsa_fp16_overflow 0
		.amdhsa_exception_fp_ieee_invalid_op 0
		.amdhsa_exception_fp_denorm_src 0
		.amdhsa_exception_fp_ieee_div_zero 0
		.amdhsa_exception_fp_ieee_overflow 0
		.amdhsa_exception_fp_ieee_underflow 0
		.amdhsa_exception_fp_ieee_inexact 0
		.amdhsa_exception_int_div_zero 0
	.end_amdhsa_kernel
	.section	.text._ZL22rocblas_sscal_2_kernelILi256EDF16_DF16_fPDF16_EviT2_lT3_lli,"axG",@progbits,_ZL22rocblas_sscal_2_kernelILi256EDF16_DF16_fPDF16_EviT2_lT3_lli,comdat
.Lfunc_end9:
	.size	_ZL22rocblas_sscal_2_kernelILi256EDF16_DF16_fPDF16_EviT2_lT3_lli, .Lfunc_end9-_ZL22rocblas_sscal_2_kernelILi256EDF16_DF16_fPDF16_EviT2_lT3_lli
                                        ; -- End function
	.set _ZL22rocblas_sscal_2_kernelILi256EDF16_DF16_fPDF16_EviT2_lT3_lli.num_vgpr, 5
	.set _ZL22rocblas_sscal_2_kernelILi256EDF16_DF16_fPDF16_EviT2_lT3_lli.num_agpr, 0
	.set _ZL22rocblas_sscal_2_kernelILi256EDF16_DF16_fPDF16_EviT2_lT3_lli.numbered_sgpr, 12
	.set _ZL22rocblas_sscal_2_kernelILi256EDF16_DF16_fPDF16_EviT2_lT3_lli.num_named_barrier, 0
	.set _ZL22rocblas_sscal_2_kernelILi256EDF16_DF16_fPDF16_EviT2_lT3_lli.private_seg_size, 0
	.set _ZL22rocblas_sscal_2_kernelILi256EDF16_DF16_fPDF16_EviT2_lT3_lli.uses_vcc, 1
	.set _ZL22rocblas_sscal_2_kernelILi256EDF16_DF16_fPDF16_EviT2_lT3_lli.uses_flat_scratch, 0
	.set _ZL22rocblas_sscal_2_kernelILi256EDF16_DF16_fPDF16_EviT2_lT3_lli.has_dyn_sized_stack, 0
	.set _ZL22rocblas_sscal_2_kernelILi256EDF16_DF16_fPDF16_EviT2_lT3_lli.has_recursion, 0
	.set _ZL22rocblas_sscal_2_kernelILi256EDF16_DF16_fPDF16_EviT2_lT3_lli.has_indirect_call, 0
	.section	.AMDGPU.csdata,"",@progbits
; Kernel info:
; codeLenInByte = 264
; TotalNumSgprs: 16
; NumVgprs: 5
; ScratchSize: 0
; MemoryBound: 0
; FloatMode: 240
; IeeeMode: 1
; LDSByteSize: 0 bytes/workgroup (compile time only)
; SGPRBlocks: 1
; VGPRBlocks: 1
; NumSGPRsForWavesPerEU: 16
; NumVGPRsForWavesPerEU: 5
; Occupancy: 10
; WaveLimiterHint : 0
; COMPUTE_PGM_RSRC2:SCRATCH_EN: 0
; COMPUTE_PGM_RSRC2:USER_SGPR: 6
; COMPUTE_PGM_RSRC2:TRAP_HANDLER: 0
; COMPUTE_PGM_RSRC2:TGID_X_EN: 1
; COMPUTE_PGM_RSRC2:TGID_Y_EN: 0
; COMPUTE_PGM_RSRC2:TGID_Z_EN: 1
; COMPUTE_PGM_RSRC2:TIDIG_COMP_CNT: 0
	.section	.text._ZL19rocblas_scal_kernelIiLi256EDF16_DF16_PKfPDF16_EviT3_lT4_lT_li,"axG",@progbits,_ZL19rocblas_scal_kernelIiLi256EDF16_DF16_PKfPDF16_EviT3_lT4_lT_li,comdat
	.globl	_ZL19rocblas_scal_kernelIiLi256EDF16_DF16_PKfPDF16_EviT3_lT4_lT_li ; -- Begin function _ZL19rocblas_scal_kernelIiLi256EDF16_DF16_PKfPDF16_EviT3_lT4_lT_li
	.p2align	8
	.type	_ZL19rocblas_scal_kernelIiLi256EDF16_DF16_PKfPDF16_EviT3_lT4_lT_li,@function
_ZL19rocblas_scal_kernelIiLi256EDF16_DF16_PKfPDF16_EviT3_lT4_lT_li: ; @_ZL19rocblas_scal_kernelIiLi256EDF16_DF16_PKfPDF16_EviT3_lT4_lT_li
; %bb.0:
	s_load_dwordx8 s[8:15], s[4:5], 0x8
	v_lshl_or_b32 v0, s6, 8, v0
	s_waitcnt lgkmcnt(0)
	s_mul_i32 s0, s11, s7
	s_mul_hi_u32 s1, s10, s7
	s_add_i32 s1, s1, s0
	s_mul_i32 s0, s10, s7
	s_lshl_b64 s[0:1], s[0:1], 2
	s_add_u32 s2, s8, s0
	s_addc_u32 s3, s9, s1
	s_load_dword s0, s[2:3], 0x0
	s_load_dword s1, s[4:5], 0x0
	s_waitcnt lgkmcnt(0)
	v_cmp_neq_f32_e64 s[2:3], s0, 1.0
	v_cmp_gt_u32_e32 vcc, s1, v0
	s_and_b64 s[2:3], vcc, s[2:3]
	s_and_saveexec_b64 s[8:9], s[2:3]
	s_cbranch_execz .LBB10_2
; %bb.1:
	s_load_dword s1, s[4:5], 0x28
	s_load_dwordx2 s[2:3], s[4:5], 0x30
	s_waitcnt lgkmcnt(0)
	s_ashr_i32 s6, s1, 31
	s_mul_i32 s3, s3, s7
	s_mul_hi_u32 s4, s2, s7
	s_add_i32 s3, s4, s3
	v_mad_u64_u32 v[1:2], s[4:5], s1, v0, 0
	s_mul_i32 s2, s2, s7
	s_lshl_b64 s[2:3], s[2:3], 1
	s_add_u32 s1, s12, s2
	s_addc_u32 s4, s13, s3
	v_mad_u64_u32 v[2:3], s[2:3], s6, v0, v[2:3]
	s_lshl_b64 s[2:3], s[14:15], 1
	s_add_u32 s1, s1, s2
	v_lshlrev_b64 v[0:1], 1, v[1:2]
	s_addc_u32 s2, s4, s3
	v_mov_b32_e32 v2, s2
	v_add_co_u32_e32 v0, vcc, s1, v0
	v_addc_co_u32_e32 v1, vcc, v2, v1, vcc
	global_load_ushort v2, v[0:1], off
	s_waitcnt vmcnt(0)
	v_fma_mixlo_f16 v2, s0, v2, 0 op_sel_hi:[0,1,0]
	global_store_short v[0:1], v2, off
.LBB10_2:
	s_endpgm
	.section	.rodata,"a",@progbits
	.p2align	6, 0x0
	.amdhsa_kernel _ZL19rocblas_scal_kernelIiLi256EDF16_DF16_PKfPDF16_EviT3_lT4_lT_li
		.amdhsa_group_segment_fixed_size 0
		.amdhsa_private_segment_fixed_size 0
		.amdhsa_kernarg_size 60
		.amdhsa_user_sgpr_count 6
		.amdhsa_user_sgpr_private_segment_buffer 1
		.amdhsa_user_sgpr_dispatch_ptr 0
		.amdhsa_user_sgpr_queue_ptr 0
		.amdhsa_user_sgpr_kernarg_segment_ptr 1
		.amdhsa_user_sgpr_dispatch_id 0
		.amdhsa_user_sgpr_flat_scratch_init 0
		.amdhsa_user_sgpr_private_segment_size 0
		.amdhsa_uses_dynamic_stack 0
		.amdhsa_system_sgpr_private_segment_wavefront_offset 0
		.amdhsa_system_sgpr_workgroup_id_x 1
		.amdhsa_system_sgpr_workgroup_id_y 0
		.amdhsa_system_sgpr_workgroup_id_z 1
		.amdhsa_system_sgpr_workgroup_info 0
		.amdhsa_system_vgpr_workitem_id 0
		.amdhsa_next_free_vgpr 4
		.amdhsa_next_free_sgpr 16
		.amdhsa_reserve_vcc 1
		.amdhsa_reserve_flat_scratch 0
		.amdhsa_float_round_mode_32 0
		.amdhsa_float_round_mode_16_64 0
		.amdhsa_float_denorm_mode_32 3
		.amdhsa_float_denorm_mode_16_64 3
		.amdhsa_dx10_clamp 1
		.amdhsa_ieee_mode 1
		.amdhsa_fp16_overflow 0
		.amdhsa_exception_fp_ieee_invalid_op 0
		.amdhsa_exception_fp_denorm_src 0
		.amdhsa_exception_fp_ieee_div_zero 0
		.amdhsa_exception_fp_ieee_overflow 0
		.amdhsa_exception_fp_ieee_underflow 0
		.amdhsa_exception_fp_ieee_inexact 0
		.amdhsa_exception_int_div_zero 0
	.end_amdhsa_kernel
	.section	.text._ZL19rocblas_scal_kernelIiLi256EDF16_DF16_PKfPDF16_EviT3_lT4_lT_li,"axG",@progbits,_ZL19rocblas_scal_kernelIiLi256EDF16_DF16_PKfPDF16_EviT3_lT4_lT_li,comdat
.Lfunc_end10:
	.size	_ZL19rocblas_scal_kernelIiLi256EDF16_DF16_PKfPDF16_EviT3_lT4_lT_li, .Lfunc_end10-_ZL19rocblas_scal_kernelIiLi256EDF16_DF16_PKfPDF16_EviT3_lT4_lT_li
                                        ; -- End function
	.set _ZL19rocblas_scal_kernelIiLi256EDF16_DF16_PKfPDF16_EviT3_lT4_lT_li.num_vgpr, 4
	.set _ZL19rocblas_scal_kernelIiLi256EDF16_DF16_PKfPDF16_EviT3_lT4_lT_li.num_agpr, 0
	.set _ZL19rocblas_scal_kernelIiLi256EDF16_DF16_PKfPDF16_EviT3_lT4_lT_li.numbered_sgpr, 16
	.set _ZL19rocblas_scal_kernelIiLi256EDF16_DF16_PKfPDF16_EviT3_lT4_lT_li.num_named_barrier, 0
	.set _ZL19rocblas_scal_kernelIiLi256EDF16_DF16_PKfPDF16_EviT3_lT4_lT_li.private_seg_size, 0
	.set _ZL19rocblas_scal_kernelIiLi256EDF16_DF16_PKfPDF16_EviT3_lT4_lT_li.uses_vcc, 1
	.set _ZL19rocblas_scal_kernelIiLi256EDF16_DF16_PKfPDF16_EviT3_lT4_lT_li.uses_flat_scratch, 0
	.set _ZL19rocblas_scal_kernelIiLi256EDF16_DF16_PKfPDF16_EviT3_lT4_lT_li.has_dyn_sized_stack, 0
	.set _ZL19rocblas_scal_kernelIiLi256EDF16_DF16_PKfPDF16_EviT3_lT4_lT_li.has_recursion, 0
	.set _ZL19rocblas_scal_kernelIiLi256EDF16_DF16_PKfPDF16_EviT3_lT4_lT_li.has_indirect_call, 0
	.section	.AMDGPU.csdata,"",@progbits
; Kernel info:
; codeLenInByte = 224
; TotalNumSgprs: 20
; NumVgprs: 4
; ScratchSize: 0
; MemoryBound: 0
; FloatMode: 240
; IeeeMode: 1
; LDSByteSize: 0 bytes/workgroup (compile time only)
; SGPRBlocks: 2
; VGPRBlocks: 0
; NumSGPRsForWavesPerEU: 20
; NumVGPRsForWavesPerEU: 4
; Occupancy: 10
; WaveLimiterHint : 0
; COMPUTE_PGM_RSRC2:SCRATCH_EN: 0
; COMPUTE_PGM_RSRC2:USER_SGPR: 6
; COMPUTE_PGM_RSRC2:TRAP_HANDLER: 0
; COMPUTE_PGM_RSRC2:TGID_X_EN: 1
; COMPUTE_PGM_RSRC2:TGID_Y_EN: 0
; COMPUTE_PGM_RSRC2:TGID_Z_EN: 1
; COMPUTE_PGM_RSRC2:TIDIG_COMP_CNT: 0
	.section	.text._ZL19rocblas_scal_kernelIiLi256EDF16_DF16_fPDF16_EviT3_lT4_lT_li,"axG",@progbits,_ZL19rocblas_scal_kernelIiLi256EDF16_DF16_fPDF16_EviT3_lT4_lT_li,comdat
	.globl	_ZL19rocblas_scal_kernelIiLi256EDF16_DF16_fPDF16_EviT3_lT4_lT_li ; -- Begin function _ZL19rocblas_scal_kernelIiLi256EDF16_DF16_fPDF16_EviT3_lT4_lT_li
	.p2align	8
	.type	_ZL19rocblas_scal_kernelIiLi256EDF16_DF16_fPDF16_EviT3_lT4_lT_li,@function
_ZL19rocblas_scal_kernelIiLi256EDF16_DF16_fPDF16_EviT3_lT4_lT_li: ; @_ZL19rocblas_scal_kernelIiLi256EDF16_DF16_fPDF16_EviT3_lT4_lT_li
; %bb.0:
	s_load_dwordx2 s[0:1], s[4:5], 0x0
	v_lshl_or_b32 v0, s6, 8, v0
	s_waitcnt lgkmcnt(0)
	v_cmp_neq_f32_e64 s[2:3], s1, 1.0
	v_cmp_gt_u32_e32 vcc, s0, v0
	s_and_b64 s[2:3], vcc, s[2:3]
	s_and_saveexec_b64 s[8:9], s[2:3]
	s_cbranch_execz .LBB11_2
; %bb.1:
	s_load_dword s0, s[4:5], 0x20
	s_load_dwordx2 s[2:3], s[4:5], 0x28
	s_load_dwordx4 s[8:11], s[4:5], 0x10
	s_waitcnt lgkmcnt(0)
	s_ashr_i32 s6, s0, 31
	s_mul_i32 s3, s3, s7
	s_mul_hi_u32 s4, s2, s7
	s_add_i32 s3, s4, s3
	v_mad_u64_u32 v[1:2], s[4:5], s0, v0, 0
	s_mul_i32 s2, s2, s7
	s_lshl_b64 s[2:3], s[2:3], 1
	s_add_u32 s0, s8, s2
	s_addc_u32 s4, s9, s3
	v_mad_u64_u32 v[2:3], s[2:3], s6, v0, v[2:3]
	s_lshl_b64 s[2:3], s[10:11], 1
	s_add_u32 s0, s0, s2
	v_lshlrev_b64 v[0:1], 1, v[1:2]
	s_addc_u32 s2, s4, s3
	v_mov_b32_e32 v2, s2
	v_add_co_u32_e32 v0, vcc, s0, v0
	v_addc_co_u32_e32 v1, vcc, v2, v1, vcc
	global_load_ushort v2, v[0:1], off
	s_waitcnt vmcnt(0)
	v_fma_mixlo_f16 v2, s1, v2, 0 op_sel_hi:[0,1,0]
	global_store_short v[0:1], v2, off
.LBB11_2:
	s_endpgm
	.section	.rodata,"a",@progbits
	.p2align	6, 0x0
	.amdhsa_kernel _ZL19rocblas_scal_kernelIiLi256EDF16_DF16_fPDF16_EviT3_lT4_lT_li
		.amdhsa_group_segment_fixed_size 0
		.amdhsa_private_segment_fixed_size 0
		.amdhsa_kernarg_size 52
		.amdhsa_user_sgpr_count 6
		.amdhsa_user_sgpr_private_segment_buffer 1
		.amdhsa_user_sgpr_dispatch_ptr 0
		.amdhsa_user_sgpr_queue_ptr 0
		.amdhsa_user_sgpr_kernarg_segment_ptr 1
		.amdhsa_user_sgpr_dispatch_id 0
		.amdhsa_user_sgpr_flat_scratch_init 0
		.amdhsa_user_sgpr_private_segment_size 0
		.amdhsa_uses_dynamic_stack 0
		.amdhsa_system_sgpr_private_segment_wavefront_offset 0
		.amdhsa_system_sgpr_workgroup_id_x 1
		.amdhsa_system_sgpr_workgroup_id_y 0
		.amdhsa_system_sgpr_workgroup_id_z 1
		.amdhsa_system_sgpr_workgroup_info 0
		.amdhsa_system_vgpr_workitem_id 0
		.amdhsa_next_free_vgpr 4
		.amdhsa_next_free_sgpr 12
		.amdhsa_reserve_vcc 1
		.amdhsa_reserve_flat_scratch 0
		.amdhsa_float_round_mode_32 0
		.amdhsa_float_round_mode_16_64 0
		.amdhsa_float_denorm_mode_32 3
		.amdhsa_float_denorm_mode_16_64 3
		.amdhsa_dx10_clamp 1
		.amdhsa_ieee_mode 1
		.amdhsa_fp16_overflow 0
		.amdhsa_exception_fp_ieee_invalid_op 0
		.amdhsa_exception_fp_denorm_src 0
		.amdhsa_exception_fp_ieee_div_zero 0
		.amdhsa_exception_fp_ieee_overflow 0
		.amdhsa_exception_fp_ieee_underflow 0
		.amdhsa_exception_fp_ieee_inexact 0
		.amdhsa_exception_int_div_zero 0
	.end_amdhsa_kernel
	.section	.text._ZL19rocblas_scal_kernelIiLi256EDF16_DF16_fPDF16_EviT3_lT4_lT_li,"axG",@progbits,_ZL19rocblas_scal_kernelIiLi256EDF16_DF16_fPDF16_EviT3_lT4_lT_li,comdat
.Lfunc_end11:
	.size	_ZL19rocblas_scal_kernelIiLi256EDF16_DF16_fPDF16_EviT3_lT4_lT_li, .Lfunc_end11-_ZL19rocblas_scal_kernelIiLi256EDF16_DF16_fPDF16_EviT3_lT4_lT_li
                                        ; -- End function
	.set _ZL19rocblas_scal_kernelIiLi256EDF16_DF16_fPDF16_EviT3_lT4_lT_li.num_vgpr, 4
	.set _ZL19rocblas_scal_kernelIiLi256EDF16_DF16_fPDF16_EviT3_lT4_lT_li.num_agpr, 0
	.set _ZL19rocblas_scal_kernelIiLi256EDF16_DF16_fPDF16_EviT3_lT4_lT_li.numbered_sgpr, 12
	.set _ZL19rocblas_scal_kernelIiLi256EDF16_DF16_fPDF16_EviT3_lT4_lT_li.num_named_barrier, 0
	.set _ZL19rocblas_scal_kernelIiLi256EDF16_DF16_fPDF16_EviT3_lT4_lT_li.private_seg_size, 0
	.set _ZL19rocblas_scal_kernelIiLi256EDF16_DF16_fPDF16_EviT3_lT4_lT_li.uses_vcc, 1
	.set _ZL19rocblas_scal_kernelIiLi256EDF16_DF16_fPDF16_EviT3_lT4_lT_li.uses_flat_scratch, 0
	.set _ZL19rocblas_scal_kernelIiLi256EDF16_DF16_fPDF16_EviT3_lT4_lT_li.has_dyn_sized_stack, 0
	.set _ZL19rocblas_scal_kernelIiLi256EDF16_DF16_fPDF16_EviT3_lT4_lT_li.has_recursion, 0
	.set _ZL19rocblas_scal_kernelIiLi256EDF16_DF16_fPDF16_EviT3_lT4_lT_li.has_indirect_call, 0
	.section	.AMDGPU.csdata,"",@progbits
; Kernel info:
; codeLenInByte = 184
; TotalNumSgprs: 16
; NumVgprs: 4
; ScratchSize: 0
; MemoryBound: 0
; FloatMode: 240
; IeeeMode: 1
; LDSByteSize: 0 bytes/workgroup (compile time only)
; SGPRBlocks: 1
; VGPRBlocks: 0
; NumSGPRsForWavesPerEU: 16
; NumVGPRsForWavesPerEU: 4
; Occupancy: 10
; WaveLimiterHint : 0
; COMPUTE_PGM_RSRC2:SCRATCH_EN: 0
; COMPUTE_PGM_RSRC2:USER_SGPR: 6
; COMPUTE_PGM_RSRC2:TRAP_HANDLER: 0
; COMPUTE_PGM_RSRC2:TGID_X_EN: 1
; COMPUTE_PGM_RSRC2:TGID_Y_EN: 0
; COMPUTE_PGM_RSRC2:TGID_Z_EN: 1
; COMPUTE_PGM_RSRC2:TIDIG_COMP_CNT: 0
	.section	.text._ZL19rocblas_scal_kernelIlLi256EDF16_DF16_PKfPDF16_EviT3_lT4_lT_li,"axG",@progbits,_ZL19rocblas_scal_kernelIlLi256EDF16_DF16_PKfPDF16_EviT3_lT4_lT_li,comdat
	.globl	_ZL19rocblas_scal_kernelIlLi256EDF16_DF16_PKfPDF16_EviT3_lT4_lT_li ; -- Begin function _ZL19rocblas_scal_kernelIlLi256EDF16_DF16_PKfPDF16_EviT3_lT4_lT_li
	.p2align	8
	.type	_ZL19rocblas_scal_kernelIlLi256EDF16_DF16_PKfPDF16_EviT3_lT4_lT_li,@function
_ZL19rocblas_scal_kernelIlLi256EDF16_DF16_PKfPDF16_EviT3_lT4_lT_li: ; @_ZL19rocblas_scal_kernelIlLi256EDF16_DF16_PKfPDF16_EviT3_lT4_lT_li
; %bb.0:
	s_load_dwordx8 s[8:15], s[4:5], 0x8
	v_lshl_or_b32 v0, s6, 8, v0
	s_waitcnt lgkmcnt(0)
	s_mul_i32 s0, s11, s7
	s_mul_hi_u32 s1, s10, s7
	s_add_i32 s1, s1, s0
	s_mul_i32 s0, s10, s7
	s_lshl_b64 s[0:1], s[0:1], 2
	s_add_u32 s2, s8, s0
	s_addc_u32 s3, s9, s1
	s_load_dword s0, s[2:3], 0x0
	s_load_dword s1, s[4:5], 0x0
	s_waitcnt lgkmcnt(0)
	v_cmp_neq_f32_e64 s[2:3], s0, 1.0
	v_cmp_gt_u32_e32 vcc, s1, v0
	s_and_b64 s[2:3], vcc, s[2:3]
	s_and_saveexec_b64 s[8:9], s[2:3]
	s_cbranch_execz .LBB12_2
; %bb.1:
	s_load_dwordx4 s[8:11], s[4:5], 0x28
	s_waitcnt lgkmcnt(0)
	s_mul_i32 s1, s11, s7
	s_mul_hi_u32 s3, s10, s7
	v_mad_u64_u32 v[1:2], s[4:5], s8, v0, 0
	s_mul_i32 s2, s10, s7
	s_add_i32 s3, s3, s1
	s_lshl_b64 s[2:3], s[2:3], 1
	s_add_u32 s1, s12, s2
	s_addc_u32 s4, s13, s3
	v_mad_u64_u32 v[2:3], s[2:3], s9, v0, v[2:3]
	s_lshl_b64 s[2:3], s[14:15], 1
	s_add_u32 s1, s1, s2
	v_lshlrev_b64 v[0:1], 1, v[1:2]
	s_addc_u32 s2, s4, s3
	v_mov_b32_e32 v2, s2
	v_add_co_u32_e32 v0, vcc, s1, v0
	v_addc_co_u32_e32 v1, vcc, v2, v1, vcc
	global_load_ushort v2, v[0:1], off
	s_waitcnt vmcnt(0)
	v_fma_mixlo_f16 v2, s0, v2, 0 op_sel_hi:[0,1,0]
	global_store_short v[0:1], v2, off
.LBB12_2:
	s_endpgm
	.section	.rodata,"a",@progbits
	.p2align	6, 0x0
	.amdhsa_kernel _ZL19rocblas_scal_kernelIlLi256EDF16_DF16_PKfPDF16_EviT3_lT4_lT_li
		.amdhsa_group_segment_fixed_size 0
		.amdhsa_private_segment_fixed_size 0
		.amdhsa_kernarg_size 60
		.amdhsa_user_sgpr_count 6
		.amdhsa_user_sgpr_private_segment_buffer 1
		.amdhsa_user_sgpr_dispatch_ptr 0
		.amdhsa_user_sgpr_queue_ptr 0
		.amdhsa_user_sgpr_kernarg_segment_ptr 1
		.amdhsa_user_sgpr_dispatch_id 0
		.amdhsa_user_sgpr_flat_scratch_init 0
		.amdhsa_user_sgpr_private_segment_size 0
		.amdhsa_uses_dynamic_stack 0
		.amdhsa_system_sgpr_private_segment_wavefront_offset 0
		.amdhsa_system_sgpr_workgroup_id_x 1
		.amdhsa_system_sgpr_workgroup_id_y 0
		.amdhsa_system_sgpr_workgroup_id_z 1
		.amdhsa_system_sgpr_workgroup_info 0
		.amdhsa_system_vgpr_workitem_id 0
		.amdhsa_next_free_vgpr 4
		.amdhsa_next_free_sgpr 16
		.amdhsa_reserve_vcc 1
		.amdhsa_reserve_flat_scratch 0
		.amdhsa_float_round_mode_32 0
		.amdhsa_float_round_mode_16_64 0
		.amdhsa_float_denorm_mode_32 3
		.amdhsa_float_denorm_mode_16_64 3
		.amdhsa_dx10_clamp 1
		.amdhsa_ieee_mode 1
		.amdhsa_fp16_overflow 0
		.amdhsa_exception_fp_ieee_invalid_op 0
		.amdhsa_exception_fp_denorm_src 0
		.amdhsa_exception_fp_ieee_div_zero 0
		.amdhsa_exception_fp_ieee_overflow 0
		.amdhsa_exception_fp_ieee_underflow 0
		.amdhsa_exception_fp_ieee_inexact 0
		.amdhsa_exception_int_div_zero 0
	.end_amdhsa_kernel
	.section	.text._ZL19rocblas_scal_kernelIlLi256EDF16_DF16_PKfPDF16_EviT3_lT4_lT_li,"axG",@progbits,_ZL19rocblas_scal_kernelIlLi256EDF16_DF16_PKfPDF16_EviT3_lT4_lT_li,comdat
.Lfunc_end12:
	.size	_ZL19rocblas_scal_kernelIlLi256EDF16_DF16_PKfPDF16_EviT3_lT4_lT_li, .Lfunc_end12-_ZL19rocblas_scal_kernelIlLi256EDF16_DF16_PKfPDF16_EviT3_lT4_lT_li
                                        ; -- End function
	.set _ZL19rocblas_scal_kernelIlLi256EDF16_DF16_PKfPDF16_EviT3_lT4_lT_li.num_vgpr, 4
	.set _ZL19rocblas_scal_kernelIlLi256EDF16_DF16_PKfPDF16_EviT3_lT4_lT_li.num_agpr, 0
	.set _ZL19rocblas_scal_kernelIlLi256EDF16_DF16_PKfPDF16_EviT3_lT4_lT_li.numbered_sgpr, 16
	.set _ZL19rocblas_scal_kernelIlLi256EDF16_DF16_PKfPDF16_EviT3_lT4_lT_li.num_named_barrier, 0
	.set _ZL19rocblas_scal_kernelIlLi256EDF16_DF16_PKfPDF16_EviT3_lT4_lT_li.private_seg_size, 0
	.set _ZL19rocblas_scal_kernelIlLi256EDF16_DF16_PKfPDF16_EviT3_lT4_lT_li.uses_vcc, 1
	.set _ZL19rocblas_scal_kernelIlLi256EDF16_DF16_PKfPDF16_EviT3_lT4_lT_li.uses_flat_scratch, 0
	.set _ZL19rocblas_scal_kernelIlLi256EDF16_DF16_PKfPDF16_EviT3_lT4_lT_li.has_dyn_sized_stack, 0
	.set _ZL19rocblas_scal_kernelIlLi256EDF16_DF16_PKfPDF16_EviT3_lT4_lT_li.has_recursion, 0
	.set _ZL19rocblas_scal_kernelIlLi256EDF16_DF16_PKfPDF16_EviT3_lT4_lT_li.has_indirect_call, 0
	.section	.AMDGPU.csdata,"",@progbits
; Kernel info:
; codeLenInByte = 212
; TotalNumSgprs: 20
; NumVgprs: 4
; ScratchSize: 0
; MemoryBound: 0
; FloatMode: 240
; IeeeMode: 1
; LDSByteSize: 0 bytes/workgroup (compile time only)
; SGPRBlocks: 2
; VGPRBlocks: 0
; NumSGPRsForWavesPerEU: 20
; NumVGPRsForWavesPerEU: 4
; Occupancy: 10
; WaveLimiterHint : 0
; COMPUTE_PGM_RSRC2:SCRATCH_EN: 0
; COMPUTE_PGM_RSRC2:USER_SGPR: 6
; COMPUTE_PGM_RSRC2:TRAP_HANDLER: 0
; COMPUTE_PGM_RSRC2:TGID_X_EN: 1
; COMPUTE_PGM_RSRC2:TGID_Y_EN: 0
; COMPUTE_PGM_RSRC2:TGID_Z_EN: 1
; COMPUTE_PGM_RSRC2:TIDIG_COMP_CNT: 0
	.section	.text._ZL19rocblas_scal_kernelIlLi256EDF16_DF16_fPDF16_EviT3_lT4_lT_li,"axG",@progbits,_ZL19rocblas_scal_kernelIlLi256EDF16_DF16_fPDF16_EviT3_lT4_lT_li,comdat
	.globl	_ZL19rocblas_scal_kernelIlLi256EDF16_DF16_fPDF16_EviT3_lT4_lT_li ; -- Begin function _ZL19rocblas_scal_kernelIlLi256EDF16_DF16_fPDF16_EviT3_lT4_lT_li
	.p2align	8
	.type	_ZL19rocblas_scal_kernelIlLi256EDF16_DF16_fPDF16_EviT3_lT4_lT_li,@function
_ZL19rocblas_scal_kernelIlLi256EDF16_DF16_fPDF16_EviT3_lT4_lT_li: ; @_ZL19rocblas_scal_kernelIlLi256EDF16_DF16_fPDF16_EviT3_lT4_lT_li
; %bb.0:
	s_load_dwordx2 s[0:1], s[4:5], 0x0
	v_lshl_or_b32 v0, s6, 8, v0
	s_waitcnt lgkmcnt(0)
	v_cmp_neq_f32_e64 s[2:3], s1, 1.0
	v_cmp_gt_u32_e32 vcc, s0, v0
	s_and_b64 s[2:3], vcc, s[2:3]
	s_and_saveexec_b64 s[8:9], s[2:3]
	s_cbranch_execz .LBB13_2
; %bb.1:
	s_load_dwordx8 s[8:15], s[4:5], 0x10
	s_waitcnt lgkmcnt(0)
	s_mul_i32 s0, s15, s7
	s_mul_hi_u32 s3, s14, s7
	v_mad_u64_u32 v[1:2], s[4:5], s12, v0, 0
	s_mul_i32 s2, s14, s7
	s_add_i32 s3, s3, s0
	s_lshl_b64 s[2:3], s[2:3], 1
	s_add_u32 s0, s8, s2
	s_addc_u32 s4, s9, s3
	v_mad_u64_u32 v[2:3], s[2:3], s13, v0, v[2:3]
	s_lshl_b64 s[2:3], s[10:11], 1
	s_add_u32 s0, s0, s2
	v_lshlrev_b64 v[0:1], 1, v[1:2]
	s_addc_u32 s2, s4, s3
	v_mov_b32_e32 v2, s2
	v_add_co_u32_e32 v0, vcc, s0, v0
	v_addc_co_u32_e32 v1, vcc, v2, v1, vcc
	global_load_ushort v2, v[0:1], off
	s_waitcnt vmcnt(0)
	v_fma_mixlo_f16 v2, s1, v2, 0 op_sel_hi:[0,1,0]
	global_store_short v[0:1], v2, off
.LBB13_2:
	s_endpgm
	.section	.rodata,"a",@progbits
	.p2align	6, 0x0
	.amdhsa_kernel _ZL19rocblas_scal_kernelIlLi256EDF16_DF16_fPDF16_EviT3_lT4_lT_li
		.amdhsa_group_segment_fixed_size 0
		.amdhsa_private_segment_fixed_size 0
		.amdhsa_kernarg_size 52
		.amdhsa_user_sgpr_count 6
		.amdhsa_user_sgpr_private_segment_buffer 1
		.amdhsa_user_sgpr_dispatch_ptr 0
		.amdhsa_user_sgpr_queue_ptr 0
		.amdhsa_user_sgpr_kernarg_segment_ptr 1
		.amdhsa_user_sgpr_dispatch_id 0
		.amdhsa_user_sgpr_flat_scratch_init 0
		.amdhsa_user_sgpr_private_segment_size 0
		.amdhsa_uses_dynamic_stack 0
		.amdhsa_system_sgpr_private_segment_wavefront_offset 0
		.amdhsa_system_sgpr_workgroup_id_x 1
		.amdhsa_system_sgpr_workgroup_id_y 0
		.amdhsa_system_sgpr_workgroup_id_z 1
		.amdhsa_system_sgpr_workgroup_info 0
		.amdhsa_system_vgpr_workitem_id 0
		.amdhsa_next_free_vgpr 4
		.amdhsa_next_free_sgpr 16
		.amdhsa_reserve_vcc 1
		.amdhsa_reserve_flat_scratch 0
		.amdhsa_float_round_mode_32 0
		.amdhsa_float_round_mode_16_64 0
		.amdhsa_float_denorm_mode_32 3
		.amdhsa_float_denorm_mode_16_64 3
		.amdhsa_dx10_clamp 1
		.amdhsa_ieee_mode 1
		.amdhsa_fp16_overflow 0
		.amdhsa_exception_fp_ieee_invalid_op 0
		.amdhsa_exception_fp_denorm_src 0
		.amdhsa_exception_fp_ieee_div_zero 0
		.amdhsa_exception_fp_ieee_overflow 0
		.amdhsa_exception_fp_ieee_underflow 0
		.amdhsa_exception_fp_ieee_inexact 0
		.amdhsa_exception_int_div_zero 0
	.end_amdhsa_kernel
	.section	.text._ZL19rocblas_scal_kernelIlLi256EDF16_DF16_fPDF16_EviT3_lT4_lT_li,"axG",@progbits,_ZL19rocblas_scal_kernelIlLi256EDF16_DF16_fPDF16_EviT3_lT4_lT_li,comdat
.Lfunc_end13:
	.size	_ZL19rocblas_scal_kernelIlLi256EDF16_DF16_fPDF16_EviT3_lT4_lT_li, .Lfunc_end13-_ZL19rocblas_scal_kernelIlLi256EDF16_DF16_fPDF16_EviT3_lT4_lT_li
                                        ; -- End function
	.set _ZL19rocblas_scal_kernelIlLi256EDF16_DF16_fPDF16_EviT3_lT4_lT_li.num_vgpr, 4
	.set _ZL19rocblas_scal_kernelIlLi256EDF16_DF16_fPDF16_EviT3_lT4_lT_li.num_agpr, 0
	.set _ZL19rocblas_scal_kernelIlLi256EDF16_DF16_fPDF16_EviT3_lT4_lT_li.numbered_sgpr, 16
	.set _ZL19rocblas_scal_kernelIlLi256EDF16_DF16_fPDF16_EviT3_lT4_lT_li.num_named_barrier, 0
	.set _ZL19rocblas_scal_kernelIlLi256EDF16_DF16_fPDF16_EviT3_lT4_lT_li.private_seg_size, 0
	.set _ZL19rocblas_scal_kernelIlLi256EDF16_DF16_fPDF16_EviT3_lT4_lT_li.uses_vcc, 1
	.set _ZL19rocblas_scal_kernelIlLi256EDF16_DF16_fPDF16_EviT3_lT4_lT_li.uses_flat_scratch, 0
	.set _ZL19rocblas_scal_kernelIlLi256EDF16_DF16_fPDF16_EviT3_lT4_lT_li.has_dyn_sized_stack, 0
	.set _ZL19rocblas_scal_kernelIlLi256EDF16_DF16_fPDF16_EviT3_lT4_lT_li.has_recursion, 0
	.set _ZL19rocblas_scal_kernelIlLi256EDF16_DF16_fPDF16_EviT3_lT4_lT_li.has_indirect_call, 0
	.section	.AMDGPU.csdata,"",@progbits
; Kernel info:
; codeLenInByte = 164
; TotalNumSgprs: 20
; NumVgprs: 4
; ScratchSize: 0
; MemoryBound: 0
; FloatMode: 240
; IeeeMode: 1
; LDSByteSize: 0 bytes/workgroup (compile time only)
; SGPRBlocks: 2
; VGPRBlocks: 0
; NumSGPRsForWavesPerEU: 20
; NumVGPRsForWavesPerEU: 4
; Occupancy: 10
; WaveLimiterHint : 0
; COMPUTE_PGM_RSRC2:SCRATCH_EN: 0
; COMPUTE_PGM_RSRC2:USER_SGPR: 6
; COMPUTE_PGM_RSRC2:TRAP_HANDLER: 0
; COMPUTE_PGM_RSRC2:TGID_X_EN: 1
; COMPUTE_PGM_RSRC2:TGID_Y_EN: 0
; COMPUTE_PGM_RSRC2:TGID_Z_EN: 1
; COMPUTE_PGM_RSRC2:TIDIG_COMP_CNT: 0
	.section	.text._ZL22rocblas_sscal_2_kernelILi256EffPKfPfEviT2_lT3_lli,"axG",@progbits,_ZL22rocblas_sscal_2_kernelILi256EffPKfPfEviT2_lT3_lli,comdat
	.globl	_ZL22rocblas_sscal_2_kernelILi256EffPKfPfEviT2_lT3_lli ; -- Begin function _ZL22rocblas_sscal_2_kernelILi256EffPKfPfEviT2_lT3_lli
	.p2align	8
	.type	_ZL22rocblas_sscal_2_kernelILi256EffPKfPfEviT2_lT3_lli,@function
_ZL22rocblas_sscal_2_kernelILi256EffPKfPfEviT2_lT3_lli: ; @_ZL22rocblas_sscal_2_kernelILi256EffPKfPfEviT2_lT3_lli
; %bb.0:
	s_load_dwordx4 s[0:3], s[4:5], 0x8
	s_waitcnt lgkmcnt(0)
	s_mul_i32 s3, s3, s7
	s_mul_hi_u32 s8, s2, s7
	s_add_i32 s3, s8, s3
	s_mul_i32 s2, s2, s7
	s_lshl_b64 s[2:3], s[2:3], 2
	s_add_u32 s0, s0, s2
	s_addc_u32 s1, s1, s3
	s_load_dword s2, s[0:1], 0x0
	s_waitcnt lgkmcnt(0)
	v_cmp_eq_f32_e64 s[0:1], s2, 1.0
	s_and_b64 vcc, exec, s[0:1]
	s_cbranch_vccnz .LBB14_5
; %bb.1:
	s_load_dwordx4 s[8:11], s[4:5], 0x20
	s_load_dwordx2 s[0:1], s[4:5], 0x18
	s_load_dword s3, s[4:5], 0x0
	v_lshlrev_b32_e32 v0, 1, v0
	v_lshl_or_b32 v0, s6, 9, v0
	s_waitcnt lgkmcnt(0)
	s_mul_i32 s4, s11, s7
	s_mul_hi_u32 s5, s10, s7
	s_add_i32 s5, s5, s4
	s_mul_i32 s4, s10, s7
	s_lshl_b64 s[4:5], s[4:5], 2
	s_add_u32 s4, s0, s4
	s_addc_u32 s5, s1, s5
	s_lshl_b64 s[0:1], s[8:9], 2
	s_add_u32 s4, s4, s0
	v_or_b32_e32 v1, 1, v0
	s_addc_u32 s5, s5, s1
	v_cmp_gt_u32_e32 vcc, s3, v1
	s_and_saveexec_b64 s[0:1], vcc
	s_cbranch_execz .LBB14_3
; %bb.2:
	v_mov_b32_e32 v1, 0
	v_lshlrev_b64 v[1:2], 2, v[0:1]
	v_mov_b32_e32 v3, s5
	v_add_co_u32_e32 v1, vcc, s4, v1
	v_addc_co_u32_e32 v2, vcc, v3, v2, vcc
	global_load_dwordx2 v[3:4], v[1:2], off
	s_waitcnt vmcnt(0)
	v_mul_f32_e32 v3, s2, v3
	v_mul_f32_e32 v4, s2, v4
	global_store_dwordx2 v[1:2], v[3:4], off
.LBB14_3:
	s_or_b64 exec, exec, s[0:1]
	s_bitcmp1_b32 s3, 0
	s_cselect_b64 s[0:1], -1, 0
	s_add_i32 s3, s3, -1
	v_cmp_eq_u32_e32 vcc, s3, v0
	s_and_b64 s[0:1], s[0:1], vcc
	s_and_saveexec_b64 s[6:7], s[0:1]
	s_cbranch_execz .LBB14_5
; %bb.4:
	v_mov_b32_e32 v1, 0
	v_lshlrev_b64 v[0:1], 2, v[0:1]
	v_mov_b32_e32 v2, s5
	v_add_co_u32_e32 v0, vcc, s4, v0
	v_addc_co_u32_e32 v1, vcc, v2, v1, vcc
	global_load_dword v2, v[0:1], off
	s_waitcnt vmcnt(0)
	v_mul_f32_e32 v2, s2, v2
	global_store_dword v[0:1], v2, off
.LBB14_5:
	s_endpgm
	.section	.rodata,"a",@progbits
	.p2align	6, 0x0
	.amdhsa_kernel _ZL22rocblas_sscal_2_kernelILi256EffPKfPfEviT2_lT3_lli
		.amdhsa_group_segment_fixed_size 0
		.amdhsa_private_segment_fixed_size 0
		.amdhsa_kernarg_size 52
		.amdhsa_user_sgpr_count 6
		.amdhsa_user_sgpr_private_segment_buffer 1
		.amdhsa_user_sgpr_dispatch_ptr 0
		.amdhsa_user_sgpr_queue_ptr 0
		.amdhsa_user_sgpr_kernarg_segment_ptr 1
		.amdhsa_user_sgpr_dispatch_id 0
		.amdhsa_user_sgpr_flat_scratch_init 0
		.amdhsa_user_sgpr_private_segment_size 0
		.amdhsa_uses_dynamic_stack 0
		.amdhsa_system_sgpr_private_segment_wavefront_offset 0
		.amdhsa_system_sgpr_workgroup_id_x 1
		.amdhsa_system_sgpr_workgroup_id_y 0
		.amdhsa_system_sgpr_workgroup_id_z 1
		.amdhsa_system_sgpr_workgroup_info 0
		.amdhsa_system_vgpr_workitem_id 0
		.amdhsa_next_free_vgpr 5
		.amdhsa_next_free_sgpr 12
		.amdhsa_reserve_vcc 1
		.amdhsa_reserve_flat_scratch 0
		.amdhsa_float_round_mode_32 0
		.amdhsa_float_round_mode_16_64 0
		.amdhsa_float_denorm_mode_32 3
		.amdhsa_float_denorm_mode_16_64 3
		.amdhsa_dx10_clamp 1
		.amdhsa_ieee_mode 1
		.amdhsa_fp16_overflow 0
		.amdhsa_exception_fp_ieee_invalid_op 0
		.amdhsa_exception_fp_denorm_src 0
		.amdhsa_exception_fp_ieee_div_zero 0
		.amdhsa_exception_fp_ieee_overflow 0
		.amdhsa_exception_fp_ieee_underflow 0
		.amdhsa_exception_fp_ieee_inexact 0
		.amdhsa_exception_int_div_zero 0
	.end_amdhsa_kernel
	.section	.text._ZL22rocblas_sscal_2_kernelILi256EffPKfPfEviT2_lT3_lli,"axG",@progbits,_ZL22rocblas_sscal_2_kernelILi256EffPKfPfEviT2_lT3_lli,comdat
.Lfunc_end14:
	.size	_ZL22rocblas_sscal_2_kernelILi256EffPKfPfEviT2_lT3_lli, .Lfunc_end14-_ZL22rocblas_sscal_2_kernelILi256EffPKfPfEviT2_lT3_lli
                                        ; -- End function
	.set _ZL22rocblas_sscal_2_kernelILi256EffPKfPfEviT2_lT3_lli.num_vgpr, 5
	.set _ZL22rocblas_sscal_2_kernelILi256EffPKfPfEviT2_lT3_lli.num_agpr, 0
	.set _ZL22rocblas_sscal_2_kernelILi256EffPKfPfEviT2_lT3_lli.numbered_sgpr, 12
	.set _ZL22rocblas_sscal_2_kernelILi256EffPKfPfEviT2_lT3_lli.num_named_barrier, 0
	.set _ZL22rocblas_sscal_2_kernelILi256EffPKfPfEviT2_lT3_lli.private_seg_size, 0
	.set _ZL22rocblas_sscal_2_kernelILi256EffPKfPfEviT2_lT3_lli.uses_vcc, 1
	.set _ZL22rocblas_sscal_2_kernelILi256EffPKfPfEviT2_lT3_lli.uses_flat_scratch, 0
	.set _ZL22rocblas_sscal_2_kernelILi256EffPKfPfEviT2_lT3_lli.has_dyn_sized_stack, 0
	.set _ZL22rocblas_sscal_2_kernelILi256EffPKfPfEviT2_lT3_lli.has_recursion, 0
	.set _ZL22rocblas_sscal_2_kernelILi256EffPKfPfEviT2_lT3_lli.has_indirect_call, 0
	.section	.AMDGPU.csdata,"",@progbits
; Kernel info:
; codeLenInByte = 300
; TotalNumSgprs: 16
; NumVgprs: 5
; ScratchSize: 0
; MemoryBound: 0
; FloatMode: 240
; IeeeMode: 1
; LDSByteSize: 0 bytes/workgroup (compile time only)
; SGPRBlocks: 1
; VGPRBlocks: 1
; NumSGPRsForWavesPerEU: 16
; NumVGPRsForWavesPerEU: 5
; Occupancy: 10
; WaveLimiterHint : 0
; COMPUTE_PGM_RSRC2:SCRATCH_EN: 0
; COMPUTE_PGM_RSRC2:USER_SGPR: 6
; COMPUTE_PGM_RSRC2:TRAP_HANDLER: 0
; COMPUTE_PGM_RSRC2:TGID_X_EN: 1
; COMPUTE_PGM_RSRC2:TGID_Y_EN: 0
; COMPUTE_PGM_RSRC2:TGID_Z_EN: 1
; COMPUTE_PGM_RSRC2:TIDIG_COMP_CNT: 0
	.section	.text._ZL22rocblas_sscal_2_kernelILi256EfffPfEviT2_lT3_lli,"axG",@progbits,_ZL22rocblas_sscal_2_kernelILi256EfffPfEviT2_lT3_lli,comdat
	.globl	_ZL22rocblas_sscal_2_kernelILi256EfffPfEviT2_lT3_lli ; -- Begin function _ZL22rocblas_sscal_2_kernelILi256EfffPfEviT2_lT3_lli
	.p2align	8
	.type	_ZL22rocblas_sscal_2_kernelILi256EfffPfEviT2_lT3_lli,@function
_ZL22rocblas_sscal_2_kernelILi256EfffPfEviT2_lT3_lli: ; @_ZL22rocblas_sscal_2_kernelILi256EfffPfEviT2_lT3_lli
; %bb.0:
	s_load_dwordx2 s[0:1], s[4:5], 0x0
	s_waitcnt lgkmcnt(0)
	v_cmp_eq_f32_e64 s[2:3], s1, 1.0
	s_and_b64 vcc, exec, s[2:3]
	s_cbranch_vccnz .LBB15_5
; %bb.1:
	s_load_dwordx4 s[8:11], s[4:5], 0x18
	s_load_dwordx2 s[2:3], s[4:5], 0x10
	v_lshlrev_b32_e32 v0, 1, v0
	v_lshl_or_b32 v0, s6, 9, v0
	v_or_b32_e32 v1, 1, v0
	s_waitcnt lgkmcnt(0)
	s_mul_i32 s4, s11, s7
	s_mul_hi_u32 s5, s10, s7
	s_add_i32 s5, s5, s4
	s_mul_i32 s4, s10, s7
	s_lshl_b64 s[4:5], s[4:5], 2
	s_add_u32 s4, s2, s4
	s_addc_u32 s5, s3, s5
	s_lshl_b64 s[2:3], s[8:9], 2
	s_add_u32 s4, s4, s2
	s_addc_u32 s5, s5, s3
	v_cmp_gt_u32_e32 vcc, s0, v1
	s_and_saveexec_b64 s[2:3], vcc
	s_cbranch_execz .LBB15_3
; %bb.2:
	v_mov_b32_e32 v1, 0
	v_lshlrev_b64 v[1:2], 2, v[0:1]
	v_mov_b32_e32 v3, s5
	v_add_co_u32_e32 v1, vcc, s4, v1
	v_addc_co_u32_e32 v2, vcc, v3, v2, vcc
	global_load_dwordx2 v[3:4], v[1:2], off
	s_waitcnt vmcnt(0)
	v_mul_f32_e32 v3, s1, v3
	v_mul_f32_e32 v4, s1, v4
	global_store_dwordx2 v[1:2], v[3:4], off
.LBB15_3:
	s_or_b64 exec, exec, s[2:3]
	s_bitcmp1_b32 s0, 0
	s_cselect_b64 s[2:3], -1, 0
	s_add_i32 s0, s0, -1
	v_cmp_eq_u32_e32 vcc, s0, v0
	s_and_b64 s[2:3], s[2:3], vcc
	s_and_saveexec_b64 s[6:7], s[2:3]
	s_cbranch_execz .LBB15_5
; %bb.4:
	v_mov_b32_e32 v1, 0
	v_lshlrev_b64 v[0:1], 2, v[0:1]
	v_mov_b32_e32 v2, s5
	v_add_co_u32_e32 v0, vcc, s4, v0
	v_addc_co_u32_e32 v1, vcc, v2, v1, vcc
	global_load_dword v2, v[0:1], off
	s_waitcnt vmcnt(0)
	v_mul_f32_e32 v2, s1, v2
	global_store_dword v[0:1], v2, off
.LBB15_5:
	s_endpgm
	.section	.rodata,"a",@progbits
	.p2align	6, 0x0
	.amdhsa_kernel _ZL22rocblas_sscal_2_kernelILi256EfffPfEviT2_lT3_lli
		.amdhsa_group_segment_fixed_size 0
		.amdhsa_private_segment_fixed_size 0
		.amdhsa_kernarg_size 44
		.amdhsa_user_sgpr_count 6
		.amdhsa_user_sgpr_private_segment_buffer 1
		.amdhsa_user_sgpr_dispatch_ptr 0
		.amdhsa_user_sgpr_queue_ptr 0
		.amdhsa_user_sgpr_kernarg_segment_ptr 1
		.amdhsa_user_sgpr_dispatch_id 0
		.amdhsa_user_sgpr_flat_scratch_init 0
		.amdhsa_user_sgpr_private_segment_size 0
		.amdhsa_uses_dynamic_stack 0
		.amdhsa_system_sgpr_private_segment_wavefront_offset 0
		.amdhsa_system_sgpr_workgroup_id_x 1
		.amdhsa_system_sgpr_workgroup_id_y 0
		.amdhsa_system_sgpr_workgroup_id_z 1
		.amdhsa_system_sgpr_workgroup_info 0
		.amdhsa_system_vgpr_workitem_id 0
		.amdhsa_next_free_vgpr 5
		.amdhsa_next_free_sgpr 12
		.amdhsa_reserve_vcc 1
		.amdhsa_reserve_flat_scratch 0
		.amdhsa_float_round_mode_32 0
		.amdhsa_float_round_mode_16_64 0
		.amdhsa_float_denorm_mode_32 3
		.amdhsa_float_denorm_mode_16_64 3
		.amdhsa_dx10_clamp 1
		.amdhsa_ieee_mode 1
		.amdhsa_fp16_overflow 0
		.amdhsa_exception_fp_ieee_invalid_op 0
		.amdhsa_exception_fp_denorm_src 0
		.amdhsa_exception_fp_ieee_div_zero 0
		.amdhsa_exception_fp_ieee_overflow 0
		.amdhsa_exception_fp_ieee_underflow 0
		.amdhsa_exception_fp_ieee_inexact 0
		.amdhsa_exception_int_div_zero 0
	.end_amdhsa_kernel
	.section	.text._ZL22rocblas_sscal_2_kernelILi256EfffPfEviT2_lT3_lli,"axG",@progbits,_ZL22rocblas_sscal_2_kernelILi256EfffPfEviT2_lT3_lli,comdat
.Lfunc_end15:
	.size	_ZL22rocblas_sscal_2_kernelILi256EfffPfEviT2_lT3_lli, .Lfunc_end15-_ZL22rocblas_sscal_2_kernelILi256EfffPfEviT2_lT3_lli
                                        ; -- End function
	.set _ZL22rocblas_sscal_2_kernelILi256EfffPfEviT2_lT3_lli.num_vgpr, 5
	.set _ZL22rocblas_sscal_2_kernelILi256EfffPfEviT2_lT3_lli.num_agpr, 0
	.set _ZL22rocblas_sscal_2_kernelILi256EfffPfEviT2_lT3_lli.numbered_sgpr, 12
	.set _ZL22rocblas_sscal_2_kernelILi256EfffPfEviT2_lT3_lli.num_named_barrier, 0
	.set _ZL22rocblas_sscal_2_kernelILi256EfffPfEviT2_lT3_lli.private_seg_size, 0
	.set _ZL22rocblas_sscal_2_kernelILi256EfffPfEviT2_lT3_lli.uses_vcc, 1
	.set _ZL22rocblas_sscal_2_kernelILi256EfffPfEviT2_lT3_lli.uses_flat_scratch, 0
	.set _ZL22rocblas_sscal_2_kernelILi256EfffPfEviT2_lT3_lli.has_dyn_sized_stack, 0
	.set _ZL22rocblas_sscal_2_kernelILi256EfffPfEviT2_lT3_lli.has_recursion, 0
	.set _ZL22rocblas_sscal_2_kernelILi256EfffPfEviT2_lT3_lli.has_indirect_call, 0
	.section	.AMDGPU.csdata,"",@progbits
; Kernel info:
; codeLenInByte = 252
; TotalNumSgprs: 16
; NumVgprs: 5
; ScratchSize: 0
; MemoryBound: 0
; FloatMode: 240
; IeeeMode: 1
; LDSByteSize: 0 bytes/workgroup (compile time only)
; SGPRBlocks: 1
; VGPRBlocks: 1
; NumSGPRsForWavesPerEU: 16
; NumVGPRsForWavesPerEU: 5
; Occupancy: 10
; WaveLimiterHint : 0
; COMPUTE_PGM_RSRC2:SCRATCH_EN: 0
; COMPUTE_PGM_RSRC2:USER_SGPR: 6
; COMPUTE_PGM_RSRC2:TRAP_HANDLER: 0
; COMPUTE_PGM_RSRC2:TGID_X_EN: 1
; COMPUTE_PGM_RSRC2:TGID_Y_EN: 0
; COMPUTE_PGM_RSRC2:TGID_Z_EN: 1
; COMPUTE_PGM_RSRC2:TIDIG_COMP_CNT: 0
	.section	.text._ZL19rocblas_scal_kernelIiLi256EffPKfPfEviT3_lT4_lT_li,"axG",@progbits,_ZL19rocblas_scal_kernelIiLi256EffPKfPfEviT3_lT4_lT_li,comdat
	.globl	_ZL19rocblas_scal_kernelIiLi256EffPKfPfEviT3_lT4_lT_li ; -- Begin function _ZL19rocblas_scal_kernelIiLi256EffPKfPfEviT3_lT4_lT_li
	.p2align	8
	.type	_ZL19rocblas_scal_kernelIiLi256EffPKfPfEviT3_lT4_lT_li,@function
_ZL19rocblas_scal_kernelIiLi256EffPKfPfEviT3_lT4_lT_li: ; @_ZL19rocblas_scal_kernelIiLi256EffPKfPfEviT3_lT4_lT_li
; %bb.0:
	s_load_dwordx8 s[8:15], s[4:5], 0x8
	v_lshl_or_b32 v0, s6, 8, v0
	s_waitcnt lgkmcnt(0)
	s_mul_i32 s0, s11, s7
	s_mul_hi_u32 s1, s10, s7
	s_add_i32 s1, s1, s0
	s_mul_i32 s0, s10, s7
	s_lshl_b64 s[0:1], s[0:1], 2
	s_add_u32 s2, s8, s0
	s_addc_u32 s3, s9, s1
	s_load_dword s0, s[2:3], 0x0
	s_load_dword s1, s[4:5], 0x0
	s_waitcnt lgkmcnt(0)
	v_cmp_neq_f32_e64 s[2:3], s0, 1.0
	v_cmp_gt_u32_e32 vcc, s1, v0
	s_and_b64 s[2:3], vcc, s[2:3]
	s_and_saveexec_b64 s[8:9], s[2:3]
	s_cbranch_execz .LBB16_2
; %bb.1:
	s_load_dword s1, s[4:5], 0x28
	s_load_dwordx2 s[2:3], s[4:5], 0x30
	s_waitcnt lgkmcnt(0)
	s_ashr_i32 s6, s1, 31
	s_mul_i32 s3, s3, s7
	s_mul_hi_u32 s4, s2, s7
	s_add_i32 s3, s4, s3
	v_mad_u64_u32 v[1:2], s[4:5], s1, v0, 0
	s_mul_i32 s2, s2, s7
	s_lshl_b64 s[2:3], s[2:3], 2
	s_add_u32 s1, s12, s2
	s_addc_u32 s4, s13, s3
	v_mad_u64_u32 v[2:3], s[2:3], s6, v0, v[2:3]
	s_lshl_b64 s[2:3], s[14:15], 2
	s_add_u32 s1, s1, s2
	v_lshlrev_b64 v[0:1], 2, v[1:2]
	s_addc_u32 s2, s4, s3
	v_mov_b32_e32 v2, s2
	v_add_co_u32_e32 v0, vcc, s1, v0
	v_addc_co_u32_e32 v1, vcc, v2, v1, vcc
	global_load_dword v2, v[0:1], off
	s_waitcnt vmcnt(0)
	v_mul_f32_e32 v2, s0, v2
	global_store_dword v[0:1], v2, off
.LBB16_2:
	s_endpgm
	.section	.rodata,"a",@progbits
	.p2align	6, 0x0
	.amdhsa_kernel _ZL19rocblas_scal_kernelIiLi256EffPKfPfEviT3_lT4_lT_li
		.amdhsa_group_segment_fixed_size 0
		.amdhsa_private_segment_fixed_size 0
		.amdhsa_kernarg_size 60
		.amdhsa_user_sgpr_count 6
		.amdhsa_user_sgpr_private_segment_buffer 1
		.amdhsa_user_sgpr_dispatch_ptr 0
		.amdhsa_user_sgpr_queue_ptr 0
		.amdhsa_user_sgpr_kernarg_segment_ptr 1
		.amdhsa_user_sgpr_dispatch_id 0
		.amdhsa_user_sgpr_flat_scratch_init 0
		.amdhsa_user_sgpr_private_segment_size 0
		.amdhsa_uses_dynamic_stack 0
		.amdhsa_system_sgpr_private_segment_wavefront_offset 0
		.amdhsa_system_sgpr_workgroup_id_x 1
		.amdhsa_system_sgpr_workgroup_id_y 0
		.amdhsa_system_sgpr_workgroup_id_z 1
		.amdhsa_system_sgpr_workgroup_info 0
		.amdhsa_system_vgpr_workitem_id 0
		.amdhsa_next_free_vgpr 4
		.amdhsa_next_free_sgpr 16
		.amdhsa_reserve_vcc 1
		.amdhsa_reserve_flat_scratch 0
		.amdhsa_float_round_mode_32 0
		.amdhsa_float_round_mode_16_64 0
		.amdhsa_float_denorm_mode_32 3
		.amdhsa_float_denorm_mode_16_64 3
		.amdhsa_dx10_clamp 1
		.amdhsa_ieee_mode 1
		.amdhsa_fp16_overflow 0
		.amdhsa_exception_fp_ieee_invalid_op 0
		.amdhsa_exception_fp_denorm_src 0
		.amdhsa_exception_fp_ieee_div_zero 0
		.amdhsa_exception_fp_ieee_overflow 0
		.amdhsa_exception_fp_ieee_underflow 0
		.amdhsa_exception_fp_ieee_inexact 0
		.amdhsa_exception_int_div_zero 0
	.end_amdhsa_kernel
	.section	.text._ZL19rocblas_scal_kernelIiLi256EffPKfPfEviT3_lT4_lT_li,"axG",@progbits,_ZL19rocblas_scal_kernelIiLi256EffPKfPfEviT3_lT4_lT_li,comdat
.Lfunc_end16:
	.size	_ZL19rocblas_scal_kernelIiLi256EffPKfPfEviT3_lT4_lT_li, .Lfunc_end16-_ZL19rocblas_scal_kernelIiLi256EffPKfPfEviT3_lT4_lT_li
                                        ; -- End function
	.set _ZL19rocblas_scal_kernelIiLi256EffPKfPfEviT3_lT4_lT_li.num_vgpr, 4
	.set _ZL19rocblas_scal_kernelIiLi256EffPKfPfEviT3_lT4_lT_li.num_agpr, 0
	.set _ZL19rocblas_scal_kernelIiLi256EffPKfPfEviT3_lT4_lT_li.numbered_sgpr, 16
	.set _ZL19rocblas_scal_kernelIiLi256EffPKfPfEviT3_lT4_lT_li.num_named_barrier, 0
	.set _ZL19rocblas_scal_kernelIiLi256EffPKfPfEviT3_lT4_lT_li.private_seg_size, 0
	.set _ZL19rocblas_scal_kernelIiLi256EffPKfPfEviT3_lT4_lT_li.uses_vcc, 1
	.set _ZL19rocblas_scal_kernelIiLi256EffPKfPfEviT3_lT4_lT_li.uses_flat_scratch, 0
	.set _ZL19rocblas_scal_kernelIiLi256EffPKfPfEviT3_lT4_lT_li.has_dyn_sized_stack, 0
	.set _ZL19rocblas_scal_kernelIiLi256EffPKfPfEviT3_lT4_lT_li.has_recursion, 0
	.set _ZL19rocblas_scal_kernelIiLi256EffPKfPfEviT3_lT4_lT_li.has_indirect_call, 0
	.section	.AMDGPU.csdata,"",@progbits
; Kernel info:
; codeLenInByte = 220
; TotalNumSgprs: 20
; NumVgprs: 4
; ScratchSize: 0
; MemoryBound: 0
; FloatMode: 240
; IeeeMode: 1
; LDSByteSize: 0 bytes/workgroup (compile time only)
; SGPRBlocks: 2
; VGPRBlocks: 0
; NumSGPRsForWavesPerEU: 20
; NumVGPRsForWavesPerEU: 4
; Occupancy: 10
; WaveLimiterHint : 0
; COMPUTE_PGM_RSRC2:SCRATCH_EN: 0
; COMPUTE_PGM_RSRC2:USER_SGPR: 6
; COMPUTE_PGM_RSRC2:TRAP_HANDLER: 0
; COMPUTE_PGM_RSRC2:TGID_X_EN: 1
; COMPUTE_PGM_RSRC2:TGID_Y_EN: 0
; COMPUTE_PGM_RSRC2:TGID_Z_EN: 1
; COMPUTE_PGM_RSRC2:TIDIG_COMP_CNT: 0
	.section	.text._ZL19rocblas_scal_kernelIiLi256EfffPfEviT3_lT4_lT_li,"axG",@progbits,_ZL19rocblas_scal_kernelIiLi256EfffPfEviT3_lT4_lT_li,comdat
	.globl	_ZL19rocblas_scal_kernelIiLi256EfffPfEviT3_lT4_lT_li ; -- Begin function _ZL19rocblas_scal_kernelIiLi256EfffPfEviT3_lT4_lT_li
	.p2align	8
	.type	_ZL19rocblas_scal_kernelIiLi256EfffPfEviT3_lT4_lT_li,@function
_ZL19rocblas_scal_kernelIiLi256EfffPfEviT3_lT4_lT_li: ; @_ZL19rocblas_scal_kernelIiLi256EfffPfEviT3_lT4_lT_li
; %bb.0:
	s_load_dwordx2 s[0:1], s[4:5], 0x0
	v_lshl_or_b32 v0, s6, 8, v0
	s_waitcnt lgkmcnt(0)
	v_cmp_neq_f32_e64 s[2:3], s1, 1.0
	v_cmp_gt_u32_e32 vcc, s0, v0
	s_and_b64 s[2:3], vcc, s[2:3]
	s_and_saveexec_b64 s[8:9], s[2:3]
	s_cbranch_execz .LBB17_2
; %bb.1:
	s_load_dword s0, s[4:5], 0x20
	s_load_dwordx2 s[2:3], s[4:5], 0x28
	s_load_dwordx4 s[8:11], s[4:5], 0x10
	s_waitcnt lgkmcnt(0)
	s_ashr_i32 s6, s0, 31
	s_mul_i32 s3, s3, s7
	s_mul_hi_u32 s4, s2, s7
	s_add_i32 s3, s4, s3
	v_mad_u64_u32 v[1:2], s[4:5], s0, v0, 0
	s_mul_i32 s2, s2, s7
	s_lshl_b64 s[2:3], s[2:3], 2
	s_add_u32 s0, s8, s2
	s_addc_u32 s4, s9, s3
	v_mad_u64_u32 v[2:3], s[2:3], s6, v0, v[2:3]
	s_lshl_b64 s[2:3], s[10:11], 2
	s_add_u32 s0, s0, s2
	v_lshlrev_b64 v[0:1], 2, v[1:2]
	s_addc_u32 s2, s4, s3
	v_mov_b32_e32 v2, s2
	v_add_co_u32_e32 v0, vcc, s0, v0
	v_addc_co_u32_e32 v1, vcc, v2, v1, vcc
	global_load_dword v2, v[0:1], off
	s_waitcnt vmcnt(0)
	v_mul_f32_e32 v2, s1, v2
	global_store_dword v[0:1], v2, off
.LBB17_2:
	s_endpgm
	.section	.rodata,"a",@progbits
	.p2align	6, 0x0
	.amdhsa_kernel _ZL19rocblas_scal_kernelIiLi256EfffPfEviT3_lT4_lT_li
		.amdhsa_group_segment_fixed_size 0
		.amdhsa_private_segment_fixed_size 0
		.amdhsa_kernarg_size 52
		.amdhsa_user_sgpr_count 6
		.amdhsa_user_sgpr_private_segment_buffer 1
		.amdhsa_user_sgpr_dispatch_ptr 0
		.amdhsa_user_sgpr_queue_ptr 0
		.amdhsa_user_sgpr_kernarg_segment_ptr 1
		.amdhsa_user_sgpr_dispatch_id 0
		.amdhsa_user_sgpr_flat_scratch_init 0
		.amdhsa_user_sgpr_private_segment_size 0
		.amdhsa_uses_dynamic_stack 0
		.amdhsa_system_sgpr_private_segment_wavefront_offset 0
		.amdhsa_system_sgpr_workgroup_id_x 1
		.amdhsa_system_sgpr_workgroup_id_y 0
		.amdhsa_system_sgpr_workgroup_id_z 1
		.amdhsa_system_sgpr_workgroup_info 0
		.amdhsa_system_vgpr_workitem_id 0
		.amdhsa_next_free_vgpr 4
		.amdhsa_next_free_sgpr 12
		.amdhsa_reserve_vcc 1
		.amdhsa_reserve_flat_scratch 0
		.amdhsa_float_round_mode_32 0
		.amdhsa_float_round_mode_16_64 0
		.amdhsa_float_denorm_mode_32 3
		.amdhsa_float_denorm_mode_16_64 3
		.amdhsa_dx10_clamp 1
		.amdhsa_ieee_mode 1
		.amdhsa_fp16_overflow 0
		.amdhsa_exception_fp_ieee_invalid_op 0
		.amdhsa_exception_fp_denorm_src 0
		.amdhsa_exception_fp_ieee_div_zero 0
		.amdhsa_exception_fp_ieee_overflow 0
		.amdhsa_exception_fp_ieee_underflow 0
		.amdhsa_exception_fp_ieee_inexact 0
		.amdhsa_exception_int_div_zero 0
	.end_amdhsa_kernel
	.section	.text._ZL19rocblas_scal_kernelIiLi256EfffPfEviT3_lT4_lT_li,"axG",@progbits,_ZL19rocblas_scal_kernelIiLi256EfffPfEviT3_lT4_lT_li,comdat
.Lfunc_end17:
	.size	_ZL19rocblas_scal_kernelIiLi256EfffPfEviT3_lT4_lT_li, .Lfunc_end17-_ZL19rocblas_scal_kernelIiLi256EfffPfEviT3_lT4_lT_li
                                        ; -- End function
	.set _ZL19rocblas_scal_kernelIiLi256EfffPfEviT3_lT4_lT_li.num_vgpr, 4
	.set _ZL19rocblas_scal_kernelIiLi256EfffPfEviT3_lT4_lT_li.num_agpr, 0
	.set _ZL19rocblas_scal_kernelIiLi256EfffPfEviT3_lT4_lT_li.numbered_sgpr, 12
	.set _ZL19rocblas_scal_kernelIiLi256EfffPfEviT3_lT4_lT_li.num_named_barrier, 0
	.set _ZL19rocblas_scal_kernelIiLi256EfffPfEviT3_lT4_lT_li.private_seg_size, 0
	.set _ZL19rocblas_scal_kernelIiLi256EfffPfEviT3_lT4_lT_li.uses_vcc, 1
	.set _ZL19rocblas_scal_kernelIiLi256EfffPfEviT3_lT4_lT_li.uses_flat_scratch, 0
	.set _ZL19rocblas_scal_kernelIiLi256EfffPfEviT3_lT4_lT_li.has_dyn_sized_stack, 0
	.set _ZL19rocblas_scal_kernelIiLi256EfffPfEviT3_lT4_lT_li.has_recursion, 0
	.set _ZL19rocblas_scal_kernelIiLi256EfffPfEviT3_lT4_lT_li.has_indirect_call, 0
	.section	.AMDGPU.csdata,"",@progbits
; Kernel info:
; codeLenInByte = 180
; TotalNumSgprs: 16
; NumVgprs: 4
; ScratchSize: 0
; MemoryBound: 0
; FloatMode: 240
; IeeeMode: 1
; LDSByteSize: 0 bytes/workgroup (compile time only)
; SGPRBlocks: 1
; VGPRBlocks: 0
; NumSGPRsForWavesPerEU: 16
; NumVGPRsForWavesPerEU: 4
; Occupancy: 10
; WaveLimiterHint : 0
; COMPUTE_PGM_RSRC2:SCRATCH_EN: 0
; COMPUTE_PGM_RSRC2:USER_SGPR: 6
; COMPUTE_PGM_RSRC2:TRAP_HANDLER: 0
; COMPUTE_PGM_RSRC2:TGID_X_EN: 1
; COMPUTE_PGM_RSRC2:TGID_Y_EN: 0
; COMPUTE_PGM_RSRC2:TGID_Z_EN: 1
; COMPUTE_PGM_RSRC2:TIDIG_COMP_CNT: 0
	.section	.text._ZL19rocblas_scal_kernelIlLi256EffPKfPfEviT3_lT4_lT_li,"axG",@progbits,_ZL19rocblas_scal_kernelIlLi256EffPKfPfEviT3_lT4_lT_li,comdat
	.globl	_ZL19rocblas_scal_kernelIlLi256EffPKfPfEviT3_lT4_lT_li ; -- Begin function _ZL19rocblas_scal_kernelIlLi256EffPKfPfEviT3_lT4_lT_li
	.p2align	8
	.type	_ZL19rocblas_scal_kernelIlLi256EffPKfPfEviT3_lT4_lT_li,@function
_ZL19rocblas_scal_kernelIlLi256EffPKfPfEviT3_lT4_lT_li: ; @_ZL19rocblas_scal_kernelIlLi256EffPKfPfEviT3_lT4_lT_li
; %bb.0:
	s_load_dwordx8 s[8:15], s[4:5], 0x8
	v_lshl_or_b32 v0, s6, 8, v0
	s_waitcnt lgkmcnt(0)
	s_mul_i32 s0, s11, s7
	s_mul_hi_u32 s1, s10, s7
	s_add_i32 s1, s1, s0
	s_mul_i32 s0, s10, s7
	s_lshl_b64 s[0:1], s[0:1], 2
	s_add_u32 s2, s8, s0
	s_addc_u32 s3, s9, s1
	s_load_dword s0, s[2:3], 0x0
	s_load_dword s1, s[4:5], 0x0
	s_waitcnt lgkmcnt(0)
	v_cmp_neq_f32_e64 s[2:3], s0, 1.0
	v_cmp_gt_u32_e32 vcc, s1, v0
	s_and_b64 s[2:3], vcc, s[2:3]
	s_and_saveexec_b64 s[8:9], s[2:3]
	s_cbranch_execz .LBB18_2
; %bb.1:
	s_load_dwordx4 s[8:11], s[4:5], 0x28
	s_waitcnt lgkmcnt(0)
	s_mul_i32 s1, s11, s7
	s_mul_hi_u32 s3, s10, s7
	v_mad_u64_u32 v[1:2], s[4:5], s8, v0, 0
	s_mul_i32 s2, s10, s7
	s_add_i32 s3, s3, s1
	s_lshl_b64 s[2:3], s[2:3], 2
	s_add_u32 s1, s12, s2
	s_addc_u32 s4, s13, s3
	v_mad_u64_u32 v[2:3], s[2:3], s9, v0, v[2:3]
	s_lshl_b64 s[2:3], s[14:15], 2
	s_add_u32 s1, s1, s2
	v_lshlrev_b64 v[0:1], 2, v[1:2]
	s_addc_u32 s2, s4, s3
	v_mov_b32_e32 v2, s2
	v_add_co_u32_e32 v0, vcc, s1, v0
	v_addc_co_u32_e32 v1, vcc, v2, v1, vcc
	global_load_dword v2, v[0:1], off
	s_waitcnt vmcnt(0)
	v_mul_f32_e32 v2, s0, v2
	global_store_dword v[0:1], v2, off
.LBB18_2:
	s_endpgm
	.section	.rodata,"a",@progbits
	.p2align	6, 0x0
	.amdhsa_kernel _ZL19rocblas_scal_kernelIlLi256EffPKfPfEviT3_lT4_lT_li
		.amdhsa_group_segment_fixed_size 0
		.amdhsa_private_segment_fixed_size 0
		.amdhsa_kernarg_size 60
		.amdhsa_user_sgpr_count 6
		.amdhsa_user_sgpr_private_segment_buffer 1
		.amdhsa_user_sgpr_dispatch_ptr 0
		.amdhsa_user_sgpr_queue_ptr 0
		.amdhsa_user_sgpr_kernarg_segment_ptr 1
		.amdhsa_user_sgpr_dispatch_id 0
		.amdhsa_user_sgpr_flat_scratch_init 0
		.amdhsa_user_sgpr_private_segment_size 0
		.amdhsa_uses_dynamic_stack 0
		.amdhsa_system_sgpr_private_segment_wavefront_offset 0
		.amdhsa_system_sgpr_workgroup_id_x 1
		.amdhsa_system_sgpr_workgroup_id_y 0
		.amdhsa_system_sgpr_workgroup_id_z 1
		.amdhsa_system_sgpr_workgroup_info 0
		.amdhsa_system_vgpr_workitem_id 0
		.amdhsa_next_free_vgpr 4
		.amdhsa_next_free_sgpr 16
		.amdhsa_reserve_vcc 1
		.amdhsa_reserve_flat_scratch 0
		.amdhsa_float_round_mode_32 0
		.amdhsa_float_round_mode_16_64 0
		.amdhsa_float_denorm_mode_32 3
		.amdhsa_float_denorm_mode_16_64 3
		.amdhsa_dx10_clamp 1
		.amdhsa_ieee_mode 1
		.amdhsa_fp16_overflow 0
		.amdhsa_exception_fp_ieee_invalid_op 0
		.amdhsa_exception_fp_denorm_src 0
		.amdhsa_exception_fp_ieee_div_zero 0
		.amdhsa_exception_fp_ieee_overflow 0
		.amdhsa_exception_fp_ieee_underflow 0
		.amdhsa_exception_fp_ieee_inexact 0
		.amdhsa_exception_int_div_zero 0
	.end_amdhsa_kernel
	.section	.text._ZL19rocblas_scal_kernelIlLi256EffPKfPfEviT3_lT4_lT_li,"axG",@progbits,_ZL19rocblas_scal_kernelIlLi256EffPKfPfEviT3_lT4_lT_li,comdat
.Lfunc_end18:
	.size	_ZL19rocblas_scal_kernelIlLi256EffPKfPfEviT3_lT4_lT_li, .Lfunc_end18-_ZL19rocblas_scal_kernelIlLi256EffPKfPfEviT3_lT4_lT_li
                                        ; -- End function
	.set _ZL19rocblas_scal_kernelIlLi256EffPKfPfEviT3_lT4_lT_li.num_vgpr, 4
	.set _ZL19rocblas_scal_kernelIlLi256EffPKfPfEviT3_lT4_lT_li.num_agpr, 0
	.set _ZL19rocblas_scal_kernelIlLi256EffPKfPfEviT3_lT4_lT_li.numbered_sgpr, 16
	.set _ZL19rocblas_scal_kernelIlLi256EffPKfPfEviT3_lT4_lT_li.num_named_barrier, 0
	.set _ZL19rocblas_scal_kernelIlLi256EffPKfPfEviT3_lT4_lT_li.private_seg_size, 0
	.set _ZL19rocblas_scal_kernelIlLi256EffPKfPfEviT3_lT4_lT_li.uses_vcc, 1
	.set _ZL19rocblas_scal_kernelIlLi256EffPKfPfEviT3_lT4_lT_li.uses_flat_scratch, 0
	.set _ZL19rocblas_scal_kernelIlLi256EffPKfPfEviT3_lT4_lT_li.has_dyn_sized_stack, 0
	.set _ZL19rocblas_scal_kernelIlLi256EffPKfPfEviT3_lT4_lT_li.has_recursion, 0
	.set _ZL19rocblas_scal_kernelIlLi256EffPKfPfEviT3_lT4_lT_li.has_indirect_call, 0
	.section	.AMDGPU.csdata,"",@progbits
; Kernel info:
; codeLenInByte = 208
; TotalNumSgprs: 20
; NumVgprs: 4
; ScratchSize: 0
; MemoryBound: 0
; FloatMode: 240
; IeeeMode: 1
; LDSByteSize: 0 bytes/workgroup (compile time only)
; SGPRBlocks: 2
; VGPRBlocks: 0
; NumSGPRsForWavesPerEU: 20
; NumVGPRsForWavesPerEU: 4
; Occupancy: 10
; WaveLimiterHint : 0
; COMPUTE_PGM_RSRC2:SCRATCH_EN: 0
; COMPUTE_PGM_RSRC2:USER_SGPR: 6
; COMPUTE_PGM_RSRC2:TRAP_HANDLER: 0
; COMPUTE_PGM_RSRC2:TGID_X_EN: 1
; COMPUTE_PGM_RSRC2:TGID_Y_EN: 0
; COMPUTE_PGM_RSRC2:TGID_Z_EN: 1
; COMPUTE_PGM_RSRC2:TIDIG_COMP_CNT: 0
	.section	.text._ZL19rocblas_scal_kernelIlLi256EfffPfEviT3_lT4_lT_li,"axG",@progbits,_ZL19rocblas_scal_kernelIlLi256EfffPfEviT3_lT4_lT_li,comdat
	.globl	_ZL19rocblas_scal_kernelIlLi256EfffPfEviT3_lT4_lT_li ; -- Begin function _ZL19rocblas_scal_kernelIlLi256EfffPfEviT3_lT4_lT_li
	.p2align	8
	.type	_ZL19rocblas_scal_kernelIlLi256EfffPfEviT3_lT4_lT_li,@function
_ZL19rocblas_scal_kernelIlLi256EfffPfEviT3_lT4_lT_li: ; @_ZL19rocblas_scal_kernelIlLi256EfffPfEviT3_lT4_lT_li
; %bb.0:
	s_load_dwordx2 s[0:1], s[4:5], 0x0
	v_lshl_or_b32 v0, s6, 8, v0
	s_waitcnt lgkmcnt(0)
	v_cmp_neq_f32_e64 s[2:3], s1, 1.0
	v_cmp_gt_u32_e32 vcc, s0, v0
	s_and_b64 s[2:3], vcc, s[2:3]
	s_and_saveexec_b64 s[8:9], s[2:3]
	s_cbranch_execz .LBB19_2
; %bb.1:
	s_load_dwordx8 s[8:15], s[4:5], 0x10
	s_waitcnt lgkmcnt(0)
	s_mul_i32 s0, s15, s7
	s_mul_hi_u32 s3, s14, s7
	v_mad_u64_u32 v[1:2], s[4:5], s12, v0, 0
	s_mul_i32 s2, s14, s7
	s_add_i32 s3, s3, s0
	s_lshl_b64 s[2:3], s[2:3], 2
	s_add_u32 s0, s8, s2
	s_addc_u32 s4, s9, s3
	v_mad_u64_u32 v[2:3], s[2:3], s13, v0, v[2:3]
	s_lshl_b64 s[2:3], s[10:11], 2
	s_add_u32 s0, s0, s2
	v_lshlrev_b64 v[0:1], 2, v[1:2]
	s_addc_u32 s2, s4, s3
	v_mov_b32_e32 v2, s2
	v_add_co_u32_e32 v0, vcc, s0, v0
	v_addc_co_u32_e32 v1, vcc, v2, v1, vcc
	global_load_dword v2, v[0:1], off
	s_waitcnt vmcnt(0)
	v_mul_f32_e32 v2, s1, v2
	global_store_dword v[0:1], v2, off
.LBB19_2:
	s_endpgm
	.section	.rodata,"a",@progbits
	.p2align	6, 0x0
	.amdhsa_kernel _ZL19rocblas_scal_kernelIlLi256EfffPfEviT3_lT4_lT_li
		.amdhsa_group_segment_fixed_size 0
		.amdhsa_private_segment_fixed_size 0
		.amdhsa_kernarg_size 52
		.amdhsa_user_sgpr_count 6
		.amdhsa_user_sgpr_private_segment_buffer 1
		.amdhsa_user_sgpr_dispatch_ptr 0
		.amdhsa_user_sgpr_queue_ptr 0
		.amdhsa_user_sgpr_kernarg_segment_ptr 1
		.amdhsa_user_sgpr_dispatch_id 0
		.amdhsa_user_sgpr_flat_scratch_init 0
		.amdhsa_user_sgpr_private_segment_size 0
		.amdhsa_uses_dynamic_stack 0
		.amdhsa_system_sgpr_private_segment_wavefront_offset 0
		.amdhsa_system_sgpr_workgroup_id_x 1
		.amdhsa_system_sgpr_workgroup_id_y 0
		.amdhsa_system_sgpr_workgroup_id_z 1
		.amdhsa_system_sgpr_workgroup_info 0
		.amdhsa_system_vgpr_workitem_id 0
		.amdhsa_next_free_vgpr 4
		.amdhsa_next_free_sgpr 16
		.amdhsa_reserve_vcc 1
		.amdhsa_reserve_flat_scratch 0
		.amdhsa_float_round_mode_32 0
		.amdhsa_float_round_mode_16_64 0
		.amdhsa_float_denorm_mode_32 3
		.amdhsa_float_denorm_mode_16_64 3
		.amdhsa_dx10_clamp 1
		.amdhsa_ieee_mode 1
		.amdhsa_fp16_overflow 0
		.amdhsa_exception_fp_ieee_invalid_op 0
		.amdhsa_exception_fp_denorm_src 0
		.amdhsa_exception_fp_ieee_div_zero 0
		.amdhsa_exception_fp_ieee_overflow 0
		.amdhsa_exception_fp_ieee_underflow 0
		.amdhsa_exception_fp_ieee_inexact 0
		.amdhsa_exception_int_div_zero 0
	.end_amdhsa_kernel
	.section	.text._ZL19rocblas_scal_kernelIlLi256EfffPfEviT3_lT4_lT_li,"axG",@progbits,_ZL19rocblas_scal_kernelIlLi256EfffPfEviT3_lT4_lT_li,comdat
.Lfunc_end19:
	.size	_ZL19rocblas_scal_kernelIlLi256EfffPfEviT3_lT4_lT_li, .Lfunc_end19-_ZL19rocblas_scal_kernelIlLi256EfffPfEviT3_lT4_lT_li
                                        ; -- End function
	.set _ZL19rocblas_scal_kernelIlLi256EfffPfEviT3_lT4_lT_li.num_vgpr, 4
	.set _ZL19rocblas_scal_kernelIlLi256EfffPfEviT3_lT4_lT_li.num_agpr, 0
	.set _ZL19rocblas_scal_kernelIlLi256EfffPfEviT3_lT4_lT_li.numbered_sgpr, 16
	.set _ZL19rocblas_scal_kernelIlLi256EfffPfEviT3_lT4_lT_li.num_named_barrier, 0
	.set _ZL19rocblas_scal_kernelIlLi256EfffPfEviT3_lT4_lT_li.private_seg_size, 0
	.set _ZL19rocblas_scal_kernelIlLi256EfffPfEviT3_lT4_lT_li.uses_vcc, 1
	.set _ZL19rocblas_scal_kernelIlLi256EfffPfEviT3_lT4_lT_li.uses_flat_scratch, 0
	.set _ZL19rocblas_scal_kernelIlLi256EfffPfEviT3_lT4_lT_li.has_dyn_sized_stack, 0
	.set _ZL19rocblas_scal_kernelIlLi256EfffPfEviT3_lT4_lT_li.has_recursion, 0
	.set _ZL19rocblas_scal_kernelIlLi256EfffPfEviT3_lT4_lT_li.has_indirect_call, 0
	.section	.AMDGPU.csdata,"",@progbits
; Kernel info:
; codeLenInByte = 160
; TotalNumSgprs: 20
; NumVgprs: 4
; ScratchSize: 0
; MemoryBound: 0
; FloatMode: 240
; IeeeMode: 1
; LDSByteSize: 0 bytes/workgroup (compile time only)
; SGPRBlocks: 2
; VGPRBlocks: 0
; NumSGPRsForWavesPerEU: 20
; NumVGPRsForWavesPerEU: 4
; Occupancy: 10
; WaveLimiterHint : 0
; COMPUTE_PGM_RSRC2:SCRATCH_EN: 0
; COMPUTE_PGM_RSRC2:USER_SGPR: 6
; COMPUTE_PGM_RSRC2:TRAP_HANDLER: 0
; COMPUTE_PGM_RSRC2:TGID_X_EN: 1
; COMPUTE_PGM_RSRC2:TGID_Y_EN: 0
; COMPUTE_PGM_RSRC2:TGID_Z_EN: 1
; COMPUTE_PGM_RSRC2:TIDIG_COMP_CNT: 0
	.section	.text._ZL22rocblas_sscal_2_kernelILi256E19rocblas_complex_numIdES1_PKS1_PS1_EviT2_lT3_lli,"axG",@progbits,_ZL22rocblas_sscal_2_kernelILi256E19rocblas_complex_numIdES1_PKS1_PS1_EviT2_lT3_lli,comdat
	.globl	_ZL22rocblas_sscal_2_kernelILi256E19rocblas_complex_numIdES1_PKS1_PS1_EviT2_lT3_lli ; -- Begin function _ZL22rocblas_sscal_2_kernelILi256E19rocblas_complex_numIdES1_PKS1_PS1_EviT2_lT3_lli
	.p2align	8
	.type	_ZL22rocblas_sscal_2_kernelILi256E19rocblas_complex_numIdES1_PKS1_PS1_EviT2_lT3_lli,@function
_ZL22rocblas_sscal_2_kernelILi256E19rocblas_complex_numIdES1_PKS1_PS1_EviT2_lT3_lli: ; @_ZL22rocblas_sscal_2_kernelILi256E19rocblas_complex_numIdES1_PKS1_PS1_EviT2_lT3_lli
; %bb.0:
	s_load_dwordx4 s[0:3], s[4:5], 0x8
	s_waitcnt lgkmcnt(0)
	s_mul_i32 s3, s3, s7
	s_mul_hi_u32 s8, s2, s7
	s_add_i32 s3, s8, s3
	s_mul_i32 s2, s2, s7
	s_lshl_b64 s[2:3], s[2:3], 4
	s_add_u32 s8, s0, s2
	s_addc_u32 s9, s1, s3
	s_load_dwordx4 s[0:3], s[8:9], 0x0
	s_waitcnt lgkmcnt(0)
	v_cmp_neq_f64_e64 s[8:9], s[0:1], 1.0
	v_cmp_neq_f64_e64 s[10:11], s[2:3], 0
	s_or_b64 s[8:9], s[8:9], s[10:11]
	s_andn2_b64 vcc, exec, s[8:9]
	s_cbranch_vccnz .LBB20_5
; %bb.1:
	s_load_dwordx4 s[12:15], s[4:5], 0x20
	s_load_dwordx2 s[10:11], s[4:5], 0x18
	s_load_dword s8, s[4:5], 0x0
	v_lshlrev_b32_e32 v0, 1, v0
	v_lshl_or_b32 v0, s6, 9, v0
	s_waitcnt lgkmcnt(0)
	s_mul_i32 s4, s15, s7
	s_mul_hi_u32 s5, s14, s7
	s_add_i32 s5, s5, s4
	s_mul_i32 s4, s14, s7
	s_lshl_b64 s[4:5], s[4:5], 4
	s_add_u32 s6, s10, s4
	s_addc_u32 s7, s11, s5
	s_lshl_b64 s[4:5], s[12:13], 4
	s_add_u32 s6, s6, s4
	v_or_b32_e32 v1, 1, v0
	s_addc_u32 s7, s7, s5
	v_cmp_gt_u32_e32 vcc, s8, v1
	s_and_saveexec_b64 s[4:5], vcc
	s_cbranch_execz .LBB20_3
; %bb.2:
	v_mov_b32_e32 v1, 0
	v_lshlrev_b64 v[1:2], 4, v[0:1]
	v_mov_b32_e32 v3, s7
	v_add_co_u32_e32 v13, vcc, s6, v1
	v_addc_co_u32_e32 v14, vcc, v3, v2, vcc
	global_load_dwordx4 v[1:4], v[13:14], off
	global_load_dwordx4 v[5:8], v[13:14], off offset:16
	s_waitcnt vmcnt(1)
	v_mul_f64 v[9:10], s[2:3], v[3:4]
	v_mul_f64 v[3:4], s[0:1], v[3:4]
	s_waitcnt vmcnt(0)
	v_mul_f64 v[15:16], s[2:3], v[7:8]
	v_fma_f64 v[9:10], s[0:1], v[1:2], -v[9:10]
	v_fma_f64 v[11:12], s[2:3], v[1:2], v[3:4]
	v_mul_f64 v[3:4], s[0:1], v[7:8]
	v_fma_f64 v[1:2], s[0:1], v[5:6], -v[15:16]
	v_fma_f64 v[3:4], s[2:3], v[5:6], v[3:4]
	global_store_dwordx4 v[13:14], v[9:12], off
	global_store_dwordx4 v[13:14], v[1:4], off offset:16
.LBB20_3:
	s_or_b64 exec, exec, s[4:5]
	s_bitcmp1_b32 s8, 0
	s_cselect_b64 s[4:5], -1, 0
	s_add_i32 s8, s8, -1
	v_cmp_eq_u32_e32 vcc, s8, v0
	s_and_b64 s[4:5], s[4:5], vcc
	s_and_saveexec_b64 s[8:9], s[4:5]
	s_cbranch_execz .LBB20_5
; %bb.4:
	v_mov_b32_e32 v1, 0
	v_lshlrev_b64 v[0:1], 4, v[0:1]
	v_mov_b32_e32 v2, s7
	v_add_co_u32_e32 v6, vcc, s6, v0
	v_addc_co_u32_e32 v7, vcc, v2, v1, vcc
	global_load_dwordx4 v[0:3], v[6:7], off
	s_waitcnt vmcnt(0)
	v_mul_f64 v[4:5], s[2:3], v[2:3]
	v_mul_f64 v[8:9], s[0:1], v[2:3]
	v_fma_f64 v[2:3], s[0:1], v[0:1], -v[4:5]
	v_fma_f64 v[4:5], s[2:3], v[0:1], v[8:9]
	global_store_dwordx4 v[6:7], v[2:5], off
.LBB20_5:
	s_endpgm
	.section	.rodata,"a",@progbits
	.p2align	6, 0x0
	.amdhsa_kernel _ZL22rocblas_sscal_2_kernelILi256E19rocblas_complex_numIdES1_PKS1_PS1_EviT2_lT3_lli
		.amdhsa_group_segment_fixed_size 0
		.amdhsa_private_segment_fixed_size 0
		.amdhsa_kernarg_size 52
		.amdhsa_user_sgpr_count 6
		.amdhsa_user_sgpr_private_segment_buffer 1
		.amdhsa_user_sgpr_dispatch_ptr 0
		.amdhsa_user_sgpr_queue_ptr 0
		.amdhsa_user_sgpr_kernarg_segment_ptr 1
		.amdhsa_user_sgpr_dispatch_id 0
		.amdhsa_user_sgpr_flat_scratch_init 0
		.amdhsa_user_sgpr_private_segment_size 0
		.amdhsa_uses_dynamic_stack 0
		.amdhsa_system_sgpr_private_segment_wavefront_offset 0
		.amdhsa_system_sgpr_workgroup_id_x 1
		.amdhsa_system_sgpr_workgroup_id_y 0
		.amdhsa_system_sgpr_workgroup_id_z 1
		.amdhsa_system_sgpr_workgroup_info 0
		.amdhsa_system_vgpr_workitem_id 0
		.amdhsa_next_free_vgpr 17
		.amdhsa_next_free_sgpr 16
		.amdhsa_reserve_vcc 1
		.amdhsa_reserve_flat_scratch 0
		.amdhsa_float_round_mode_32 0
		.amdhsa_float_round_mode_16_64 0
		.amdhsa_float_denorm_mode_32 3
		.amdhsa_float_denorm_mode_16_64 3
		.amdhsa_dx10_clamp 1
		.amdhsa_ieee_mode 1
		.amdhsa_fp16_overflow 0
		.amdhsa_exception_fp_ieee_invalid_op 0
		.amdhsa_exception_fp_denorm_src 0
		.amdhsa_exception_fp_ieee_div_zero 0
		.amdhsa_exception_fp_ieee_overflow 0
		.amdhsa_exception_fp_ieee_underflow 0
		.amdhsa_exception_fp_ieee_inexact 0
		.amdhsa_exception_int_div_zero 0
	.end_amdhsa_kernel
	.section	.text._ZL22rocblas_sscal_2_kernelILi256E19rocblas_complex_numIdES1_PKS1_PS1_EviT2_lT3_lli,"axG",@progbits,_ZL22rocblas_sscal_2_kernelILi256E19rocblas_complex_numIdES1_PKS1_PS1_EviT2_lT3_lli,comdat
.Lfunc_end20:
	.size	_ZL22rocblas_sscal_2_kernelILi256E19rocblas_complex_numIdES1_PKS1_PS1_EviT2_lT3_lli, .Lfunc_end20-_ZL22rocblas_sscal_2_kernelILi256E19rocblas_complex_numIdES1_PKS1_PS1_EviT2_lT3_lli
                                        ; -- End function
	.set _ZL22rocblas_sscal_2_kernelILi256E19rocblas_complex_numIdES1_PKS1_PS1_EviT2_lT3_lli.num_vgpr, 17
	.set _ZL22rocblas_sscal_2_kernelILi256E19rocblas_complex_numIdES1_PKS1_PS1_EviT2_lT3_lli.num_agpr, 0
	.set _ZL22rocblas_sscal_2_kernelILi256E19rocblas_complex_numIdES1_PKS1_PS1_EviT2_lT3_lli.numbered_sgpr, 16
	.set _ZL22rocblas_sscal_2_kernelILi256E19rocblas_complex_numIdES1_PKS1_PS1_EviT2_lT3_lli.num_named_barrier, 0
	.set _ZL22rocblas_sscal_2_kernelILi256E19rocblas_complex_numIdES1_PKS1_PS1_EviT2_lT3_lli.private_seg_size, 0
	.set _ZL22rocblas_sscal_2_kernelILi256E19rocblas_complex_numIdES1_PKS1_PS1_EviT2_lT3_lli.uses_vcc, 1
	.set _ZL22rocblas_sscal_2_kernelILi256E19rocblas_complex_numIdES1_PKS1_PS1_EviT2_lT3_lli.uses_flat_scratch, 0
	.set _ZL22rocblas_sscal_2_kernelILi256E19rocblas_complex_numIdES1_PKS1_PS1_EviT2_lT3_lli.has_dyn_sized_stack, 0
	.set _ZL22rocblas_sscal_2_kernelILi256E19rocblas_complex_numIdES1_PKS1_PS1_EviT2_lT3_lli.has_recursion, 0
	.set _ZL22rocblas_sscal_2_kernelILi256E19rocblas_complex_numIdES1_PKS1_PS1_EviT2_lT3_lli.has_indirect_call, 0
	.section	.AMDGPU.csdata,"",@progbits
; Kernel info:
; codeLenInByte = 416
; TotalNumSgprs: 20
; NumVgprs: 17
; ScratchSize: 0
; MemoryBound: 0
; FloatMode: 240
; IeeeMode: 1
; LDSByteSize: 0 bytes/workgroup (compile time only)
; SGPRBlocks: 2
; VGPRBlocks: 4
; NumSGPRsForWavesPerEU: 20
; NumVGPRsForWavesPerEU: 17
; Occupancy: 10
; WaveLimiterHint : 0
; COMPUTE_PGM_RSRC2:SCRATCH_EN: 0
; COMPUTE_PGM_RSRC2:USER_SGPR: 6
; COMPUTE_PGM_RSRC2:TRAP_HANDLER: 0
; COMPUTE_PGM_RSRC2:TGID_X_EN: 1
; COMPUTE_PGM_RSRC2:TGID_Y_EN: 0
; COMPUTE_PGM_RSRC2:TGID_Z_EN: 1
; COMPUTE_PGM_RSRC2:TIDIG_COMP_CNT: 0
	.section	.text._ZL22rocblas_sscal_2_kernelILi256E19rocblas_complex_numIdES1_S1_PS1_EviT2_lT3_lli,"axG",@progbits,_ZL22rocblas_sscal_2_kernelILi256E19rocblas_complex_numIdES1_S1_PS1_EviT2_lT3_lli,comdat
	.globl	_ZL22rocblas_sscal_2_kernelILi256E19rocblas_complex_numIdES1_S1_PS1_EviT2_lT3_lli ; -- Begin function _ZL22rocblas_sscal_2_kernelILi256E19rocblas_complex_numIdES1_S1_PS1_EviT2_lT3_lli
	.p2align	8
	.type	_ZL22rocblas_sscal_2_kernelILi256E19rocblas_complex_numIdES1_S1_PS1_EviT2_lT3_lli,@function
_ZL22rocblas_sscal_2_kernelILi256E19rocblas_complex_numIdES1_S1_PS1_EviT2_lT3_lli: ; @_ZL22rocblas_sscal_2_kernelILi256E19rocblas_complex_numIdES1_S1_PS1_EviT2_lT3_lli
; %bb.0:
	s_load_dwordx4 s[0:3], s[4:5], 0x8
	s_waitcnt lgkmcnt(0)
	v_cmp_neq_f64_e64 s[8:9], s[0:1], 1.0
	v_cmp_neq_f64_e64 s[10:11], s[2:3], 0
	s_or_b64 s[8:9], s[8:9], s[10:11]
	s_andn2_b64 vcc, exec, s[8:9]
	s_cbranch_vccnz .LBB21_5
; %bb.1:
	s_load_dwordx4 s[12:15], s[4:5], 0x28
	s_load_dwordx2 s[10:11], s[4:5], 0x20
	s_load_dword s8, s[4:5], 0x0
	v_lshlrev_b32_e32 v0, 1, v0
	v_lshl_or_b32 v0, s6, 9, v0
	s_waitcnt lgkmcnt(0)
	s_mul_i32 s4, s15, s7
	s_mul_hi_u32 s5, s14, s7
	s_add_i32 s5, s5, s4
	s_mul_i32 s4, s14, s7
	s_lshl_b64 s[4:5], s[4:5], 4
	s_add_u32 s6, s10, s4
	s_addc_u32 s7, s11, s5
	s_lshl_b64 s[4:5], s[12:13], 4
	s_add_u32 s6, s6, s4
	v_or_b32_e32 v1, 1, v0
	s_addc_u32 s7, s7, s5
	v_cmp_gt_u32_e32 vcc, s8, v1
	s_and_saveexec_b64 s[4:5], vcc
	s_cbranch_execz .LBB21_3
; %bb.2:
	v_mov_b32_e32 v1, 0
	v_lshlrev_b64 v[1:2], 4, v[0:1]
	v_mov_b32_e32 v3, s7
	v_add_co_u32_e32 v13, vcc, s6, v1
	v_addc_co_u32_e32 v14, vcc, v3, v2, vcc
	global_load_dwordx4 v[1:4], v[13:14], off
	global_load_dwordx4 v[5:8], v[13:14], off offset:16
	s_waitcnt vmcnt(1)
	v_mul_f64 v[9:10], s[2:3], v[3:4]
	v_mul_f64 v[3:4], s[0:1], v[3:4]
	s_waitcnt vmcnt(0)
	v_mul_f64 v[15:16], s[2:3], v[7:8]
	v_fma_f64 v[9:10], s[0:1], v[1:2], -v[9:10]
	v_fma_f64 v[11:12], s[2:3], v[1:2], v[3:4]
	v_mul_f64 v[3:4], s[0:1], v[7:8]
	v_fma_f64 v[1:2], s[0:1], v[5:6], -v[15:16]
	v_fma_f64 v[3:4], s[2:3], v[5:6], v[3:4]
	global_store_dwordx4 v[13:14], v[9:12], off
	global_store_dwordx4 v[13:14], v[1:4], off offset:16
.LBB21_3:
	s_or_b64 exec, exec, s[4:5]
	s_bitcmp1_b32 s8, 0
	s_cselect_b64 s[4:5], -1, 0
	s_add_i32 s8, s8, -1
	v_cmp_eq_u32_e32 vcc, s8, v0
	s_and_b64 s[4:5], s[4:5], vcc
	s_and_saveexec_b64 s[8:9], s[4:5]
	s_cbranch_execz .LBB21_5
; %bb.4:
	v_mov_b32_e32 v1, 0
	v_lshlrev_b64 v[0:1], 4, v[0:1]
	v_mov_b32_e32 v2, s7
	v_add_co_u32_e32 v6, vcc, s6, v0
	v_addc_co_u32_e32 v7, vcc, v2, v1, vcc
	global_load_dwordx4 v[0:3], v[6:7], off
	s_waitcnt vmcnt(0)
	v_mul_f64 v[4:5], s[2:3], v[2:3]
	v_mul_f64 v[8:9], s[0:1], v[2:3]
	v_fma_f64 v[2:3], s[0:1], v[0:1], -v[4:5]
	v_fma_f64 v[4:5], s[2:3], v[0:1], v[8:9]
	global_store_dwordx4 v[6:7], v[2:5], off
.LBB21_5:
	s_endpgm
	.section	.rodata,"a",@progbits
	.p2align	6, 0x0
	.amdhsa_kernel _ZL22rocblas_sscal_2_kernelILi256E19rocblas_complex_numIdES1_S1_PS1_EviT2_lT3_lli
		.amdhsa_group_segment_fixed_size 0
		.amdhsa_private_segment_fixed_size 0
		.amdhsa_kernarg_size 60
		.amdhsa_user_sgpr_count 6
		.amdhsa_user_sgpr_private_segment_buffer 1
		.amdhsa_user_sgpr_dispatch_ptr 0
		.amdhsa_user_sgpr_queue_ptr 0
		.amdhsa_user_sgpr_kernarg_segment_ptr 1
		.amdhsa_user_sgpr_dispatch_id 0
		.amdhsa_user_sgpr_flat_scratch_init 0
		.amdhsa_user_sgpr_private_segment_size 0
		.amdhsa_uses_dynamic_stack 0
		.amdhsa_system_sgpr_private_segment_wavefront_offset 0
		.amdhsa_system_sgpr_workgroup_id_x 1
		.amdhsa_system_sgpr_workgroup_id_y 0
		.amdhsa_system_sgpr_workgroup_id_z 1
		.amdhsa_system_sgpr_workgroup_info 0
		.amdhsa_system_vgpr_workitem_id 0
		.amdhsa_next_free_vgpr 17
		.amdhsa_next_free_sgpr 16
		.amdhsa_reserve_vcc 1
		.amdhsa_reserve_flat_scratch 0
		.amdhsa_float_round_mode_32 0
		.amdhsa_float_round_mode_16_64 0
		.amdhsa_float_denorm_mode_32 3
		.amdhsa_float_denorm_mode_16_64 3
		.amdhsa_dx10_clamp 1
		.amdhsa_ieee_mode 1
		.amdhsa_fp16_overflow 0
		.amdhsa_exception_fp_ieee_invalid_op 0
		.amdhsa_exception_fp_denorm_src 0
		.amdhsa_exception_fp_ieee_div_zero 0
		.amdhsa_exception_fp_ieee_overflow 0
		.amdhsa_exception_fp_ieee_underflow 0
		.amdhsa_exception_fp_ieee_inexact 0
		.amdhsa_exception_int_div_zero 0
	.end_amdhsa_kernel
	.section	.text._ZL22rocblas_sscal_2_kernelILi256E19rocblas_complex_numIdES1_S1_PS1_EviT2_lT3_lli,"axG",@progbits,_ZL22rocblas_sscal_2_kernelILi256E19rocblas_complex_numIdES1_S1_PS1_EviT2_lT3_lli,comdat
.Lfunc_end21:
	.size	_ZL22rocblas_sscal_2_kernelILi256E19rocblas_complex_numIdES1_S1_PS1_EviT2_lT3_lli, .Lfunc_end21-_ZL22rocblas_sscal_2_kernelILi256E19rocblas_complex_numIdES1_S1_PS1_EviT2_lT3_lli
                                        ; -- End function
	.set _ZL22rocblas_sscal_2_kernelILi256E19rocblas_complex_numIdES1_S1_PS1_EviT2_lT3_lli.num_vgpr, 17
	.set _ZL22rocblas_sscal_2_kernelILi256E19rocblas_complex_numIdES1_S1_PS1_EviT2_lT3_lli.num_agpr, 0
	.set _ZL22rocblas_sscal_2_kernelILi256E19rocblas_complex_numIdES1_S1_PS1_EviT2_lT3_lli.numbered_sgpr, 16
	.set _ZL22rocblas_sscal_2_kernelILi256E19rocblas_complex_numIdES1_S1_PS1_EviT2_lT3_lli.num_named_barrier, 0
	.set _ZL22rocblas_sscal_2_kernelILi256E19rocblas_complex_numIdES1_S1_PS1_EviT2_lT3_lli.private_seg_size, 0
	.set _ZL22rocblas_sscal_2_kernelILi256E19rocblas_complex_numIdES1_S1_PS1_EviT2_lT3_lli.uses_vcc, 1
	.set _ZL22rocblas_sscal_2_kernelILi256E19rocblas_complex_numIdES1_S1_PS1_EviT2_lT3_lli.uses_flat_scratch, 0
	.set _ZL22rocblas_sscal_2_kernelILi256E19rocblas_complex_numIdES1_S1_PS1_EviT2_lT3_lli.has_dyn_sized_stack, 0
	.set _ZL22rocblas_sscal_2_kernelILi256E19rocblas_complex_numIdES1_S1_PS1_EviT2_lT3_lli.has_recursion, 0
	.set _ZL22rocblas_sscal_2_kernelILi256E19rocblas_complex_numIdES1_S1_PS1_EviT2_lT3_lli.has_indirect_call, 0
	.section	.AMDGPU.csdata,"",@progbits
; Kernel info:
; codeLenInByte = 376
; TotalNumSgprs: 20
; NumVgprs: 17
; ScratchSize: 0
; MemoryBound: 0
; FloatMode: 240
; IeeeMode: 1
; LDSByteSize: 0 bytes/workgroup (compile time only)
; SGPRBlocks: 2
; VGPRBlocks: 4
; NumSGPRsForWavesPerEU: 20
; NumVGPRsForWavesPerEU: 17
; Occupancy: 10
; WaveLimiterHint : 0
; COMPUTE_PGM_RSRC2:SCRATCH_EN: 0
; COMPUTE_PGM_RSRC2:USER_SGPR: 6
; COMPUTE_PGM_RSRC2:TRAP_HANDLER: 0
; COMPUTE_PGM_RSRC2:TGID_X_EN: 1
; COMPUTE_PGM_RSRC2:TGID_Y_EN: 0
; COMPUTE_PGM_RSRC2:TGID_Z_EN: 1
; COMPUTE_PGM_RSRC2:TIDIG_COMP_CNT: 0
	.section	.text._ZL19rocblas_scal_kernelIiLi256E19rocblas_complex_numIdES1_PKS1_PS1_EviT3_lT4_lT_li,"axG",@progbits,_ZL19rocblas_scal_kernelIiLi256E19rocblas_complex_numIdES1_PKS1_PS1_EviT3_lT4_lT_li,comdat
	.globl	_ZL19rocblas_scal_kernelIiLi256E19rocblas_complex_numIdES1_PKS1_PS1_EviT3_lT4_lT_li ; -- Begin function _ZL19rocblas_scal_kernelIiLi256E19rocblas_complex_numIdES1_PKS1_PS1_EviT3_lT4_lT_li
	.p2align	8
	.type	_ZL19rocblas_scal_kernelIiLi256E19rocblas_complex_numIdES1_PKS1_PS1_EviT3_lT4_lT_li,@function
_ZL19rocblas_scal_kernelIiLi256E19rocblas_complex_numIdES1_PKS1_PS1_EviT3_lT4_lT_li: ; @_ZL19rocblas_scal_kernelIiLi256E19rocblas_complex_numIdES1_PKS1_PS1_EviT3_lT4_lT_li
; %bb.0:
	s_load_dwordx8 s[8:15], s[4:5], 0x8
	s_load_dword s16, s[4:5], 0x0
	v_lshl_or_b32 v0, s6, 8, v0
	s_waitcnt lgkmcnt(0)
	s_mul_i32 s0, s11, s7
	s_mul_hi_u32 s1, s10, s7
	s_add_i32 s1, s1, s0
	s_mul_i32 s0, s10, s7
	s_lshl_b64 s[0:1], s[0:1], 4
	s_add_u32 s8, s8, s0
	s_addc_u32 s9, s9, s1
	s_load_dwordx4 s[0:3], s[8:9], 0x0
	v_cmp_gt_u32_e32 vcc, s16, v0
	s_waitcnt lgkmcnt(0)
	v_cmp_neq_f64_e64 s[8:9], s[0:1], 1.0
	v_cmp_neq_f64_e64 s[10:11], s[2:3], 0
	s_or_b64 s[8:9], s[8:9], s[10:11]
	s_and_b64 s[8:9], vcc, s[8:9]
	s_and_saveexec_b64 s[10:11], s[8:9]
	s_cbranch_execz .LBB22_2
; %bb.1:
	s_load_dword s6, s[4:5], 0x28
	s_load_dwordx2 s[8:9], s[4:5], 0x30
	s_waitcnt lgkmcnt(0)
	s_ashr_i32 s10, s6, 31
	s_mul_i32 s5, s9, s7
	s_mul_hi_u32 s9, s8, s7
	s_mul_i32 s4, s8, s7
	v_mad_u64_u32 v[1:2], s[6:7], s6, v0, 0
	s_add_i32 s5, s9, s5
	s_lshl_b64 s[4:5], s[4:5], 4
	s_add_u32 s6, s12, s4
	s_addc_u32 s7, s13, s5
	v_mad_u64_u32 v[2:3], s[4:5], s10, v0, v[2:3]
	s_lshl_b64 s[4:5], s[14:15], 4
	s_add_u32 s4, s6, s4
	v_lshlrev_b64 v[0:1], 4, v[1:2]
	s_addc_u32 s5, s7, s5
	v_mov_b32_e32 v2, s5
	v_add_co_u32_e32 v6, vcc, s4, v0
	v_addc_co_u32_e32 v7, vcc, v2, v1, vcc
	global_load_dwordx4 v[0:3], v[6:7], off
	s_waitcnt vmcnt(0)
	v_mul_f64 v[4:5], s[2:3], v[2:3]
	v_mul_f64 v[8:9], s[0:1], v[2:3]
	v_fma_f64 v[2:3], s[0:1], v[0:1], -v[4:5]
	v_fma_f64 v[4:5], s[2:3], v[0:1], v[8:9]
	global_store_dwordx4 v[6:7], v[2:5], off
.LBB22_2:
	s_endpgm
	.section	.rodata,"a",@progbits
	.p2align	6, 0x0
	.amdhsa_kernel _ZL19rocblas_scal_kernelIiLi256E19rocblas_complex_numIdES1_PKS1_PS1_EviT3_lT4_lT_li
		.amdhsa_group_segment_fixed_size 0
		.amdhsa_private_segment_fixed_size 0
		.amdhsa_kernarg_size 60
		.amdhsa_user_sgpr_count 6
		.amdhsa_user_sgpr_private_segment_buffer 1
		.amdhsa_user_sgpr_dispatch_ptr 0
		.amdhsa_user_sgpr_queue_ptr 0
		.amdhsa_user_sgpr_kernarg_segment_ptr 1
		.amdhsa_user_sgpr_dispatch_id 0
		.amdhsa_user_sgpr_flat_scratch_init 0
		.amdhsa_user_sgpr_private_segment_size 0
		.amdhsa_uses_dynamic_stack 0
		.amdhsa_system_sgpr_private_segment_wavefront_offset 0
		.amdhsa_system_sgpr_workgroup_id_x 1
		.amdhsa_system_sgpr_workgroup_id_y 0
		.amdhsa_system_sgpr_workgroup_id_z 1
		.amdhsa_system_sgpr_workgroup_info 0
		.amdhsa_system_vgpr_workitem_id 0
		.amdhsa_next_free_vgpr 10
		.amdhsa_next_free_sgpr 17
		.amdhsa_reserve_vcc 1
		.amdhsa_reserve_flat_scratch 0
		.amdhsa_float_round_mode_32 0
		.amdhsa_float_round_mode_16_64 0
		.amdhsa_float_denorm_mode_32 3
		.amdhsa_float_denorm_mode_16_64 3
		.amdhsa_dx10_clamp 1
		.amdhsa_ieee_mode 1
		.amdhsa_fp16_overflow 0
		.amdhsa_exception_fp_ieee_invalid_op 0
		.amdhsa_exception_fp_denorm_src 0
		.amdhsa_exception_fp_ieee_div_zero 0
		.amdhsa_exception_fp_ieee_overflow 0
		.amdhsa_exception_fp_ieee_underflow 0
		.amdhsa_exception_fp_ieee_inexact 0
		.amdhsa_exception_int_div_zero 0
	.end_amdhsa_kernel
	.section	.text._ZL19rocblas_scal_kernelIiLi256E19rocblas_complex_numIdES1_PKS1_PS1_EviT3_lT4_lT_li,"axG",@progbits,_ZL19rocblas_scal_kernelIiLi256E19rocblas_complex_numIdES1_PKS1_PS1_EviT3_lT4_lT_li,comdat
.Lfunc_end22:
	.size	_ZL19rocblas_scal_kernelIiLi256E19rocblas_complex_numIdES1_PKS1_PS1_EviT3_lT4_lT_li, .Lfunc_end22-_ZL19rocblas_scal_kernelIiLi256E19rocblas_complex_numIdES1_PKS1_PS1_EviT3_lT4_lT_li
                                        ; -- End function
	.set _ZL19rocblas_scal_kernelIiLi256E19rocblas_complex_numIdES1_PKS1_PS1_EviT3_lT4_lT_li.num_vgpr, 10
	.set _ZL19rocblas_scal_kernelIiLi256E19rocblas_complex_numIdES1_PKS1_PS1_EviT3_lT4_lT_li.num_agpr, 0
	.set _ZL19rocblas_scal_kernelIiLi256E19rocblas_complex_numIdES1_PKS1_PS1_EviT3_lT4_lT_li.numbered_sgpr, 17
	.set _ZL19rocblas_scal_kernelIiLi256E19rocblas_complex_numIdES1_PKS1_PS1_EviT3_lT4_lT_li.num_named_barrier, 0
	.set _ZL19rocblas_scal_kernelIiLi256E19rocblas_complex_numIdES1_PKS1_PS1_EviT3_lT4_lT_li.private_seg_size, 0
	.set _ZL19rocblas_scal_kernelIiLi256E19rocblas_complex_numIdES1_PKS1_PS1_EviT3_lT4_lT_li.uses_vcc, 1
	.set _ZL19rocblas_scal_kernelIiLi256E19rocblas_complex_numIdES1_PKS1_PS1_EviT3_lT4_lT_li.uses_flat_scratch, 0
	.set _ZL19rocblas_scal_kernelIiLi256E19rocblas_complex_numIdES1_PKS1_PS1_EviT3_lT4_lT_li.has_dyn_sized_stack, 0
	.set _ZL19rocblas_scal_kernelIiLi256E19rocblas_complex_numIdES1_PKS1_PS1_EviT3_lT4_lT_li.has_recursion, 0
	.set _ZL19rocblas_scal_kernelIiLi256E19rocblas_complex_numIdES1_PKS1_PS1_EviT3_lT4_lT_li.has_indirect_call, 0
	.section	.AMDGPU.csdata,"",@progbits
; Kernel info:
; codeLenInByte = 260
; TotalNumSgprs: 21
; NumVgprs: 10
; ScratchSize: 0
; MemoryBound: 0
; FloatMode: 240
; IeeeMode: 1
; LDSByteSize: 0 bytes/workgroup (compile time only)
; SGPRBlocks: 2
; VGPRBlocks: 2
; NumSGPRsForWavesPerEU: 21
; NumVGPRsForWavesPerEU: 10
; Occupancy: 10
; WaveLimiterHint : 0
; COMPUTE_PGM_RSRC2:SCRATCH_EN: 0
; COMPUTE_PGM_RSRC2:USER_SGPR: 6
; COMPUTE_PGM_RSRC2:TRAP_HANDLER: 0
; COMPUTE_PGM_RSRC2:TGID_X_EN: 1
; COMPUTE_PGM_RSRC2:TGID_Y_EN: 0
; COMPUTE_PGM_RSRC2:TGID_Z_EN: 1
; COMPUTE_PGM_RSRC2:TIDIG_COMP_CNT: 0
	.section	.text._ZL19rocblas_scal_kernelIiLi256E19rocblas_complex_numIdES1_S1_PS1_EviT3_lT4_lT_li,"axG",@progbits,_ZL19rocblas_scal_kernelIiLi256E19rocblas_complex_numIdES1_S1_PS1_EviT3_lT4_lT_li,comdat
	.globl	_ZL19rocblas_scal_kernelIiLi256E19rocblas_complex_numIdES1_S1_PS1_EviT3_lT4_lT_li ; -- Begin function _ZL19rocblas_scal_kernelIiLi256E19rocblas_complex_numIdES1_S1_PS1_EviT3_lT4_lT_li
	.p2align	8
	.type	_ZL19rocblas_scal_kernelIiLi256E19rocblas_complex_numIdES1_S1_PS1_EviT3_lT4_lT_li,@function
_ZL19rocblas_scal_kernelIiLi256E19rocblas_complex_numIdES1_S1_PS1_EviT3_lT4_lT_li: ; @_ZL19rocblas_scal_kernelIiLi256E19rocblas_complex_numIdES1_S1_PS1_EviT3_lT4_lT_li
; %bb.0:
	s_load_dwordx4 s[0:3], s[4:5], 0x8
	s_load_dword s12, s[4:5], 0x0
	v_lshl_or_b32 v0, s6, 8, v0
	s_waitcnt lgkmcnt(0)
	v_cmp_neq_f64_e64 s[8:9], s[0:1], 1.0
	v_cmp_neq_f64_e64 s[10:11], s[2:3], 0
	v_cmp_gt_u32_e32 vcc, s12, v0
	s_or_b64 s[8:9], s[8:9], s[10:11]
	s_and_b64 s[8:9], vcc, s[8:9]
	s_and_saveexec_b64 s[10:11], s[8:9]
	s_cbranch_execz .LBB23_2
; %bb.1:
	s_load_dword s6, s[4:5], 0x30
	s_load_dwordx2 s[12:13], s[4:5], 0x38
	s_load_dwordx4 s[8:11], s[4:5], 0x20
	s_waitcnt lgkmcnt(0)
	s_ashr_i32 s14, s6, 31
	s_mul_i32 s4, s13, s7
	s_mul_hi_u32 s5, s12, s7
	s_add_i32 s5, s5, s4
	s_mul_i32 s4, s12, s7
	v_mad_u64_u32 v[1:2], s[6:7], s6, v0, 0
	s_lshl_b64 s[4:5], s[4:5], 4
	s_add_u32 s6, s8, s4
	s_addc_u32 s7, s9, s5
	v_mad_u64_u32 v[2:3], s[4:5], s14, v0, v[2:3]
	s_lshl_b64 s[4:5], s[10:11], 4
	s_add_u32 s4, s6, s4
	v_lshlrev_b64 v[0:1], 4, v[1:2]
	s_addc_u32 s5, s7, s5
	v_mov_b32_e32 v2, s5
	v_add_co_u32_e32 v6, vcc, s4, v0
	v_addc_co_u32_e32 v7, vcc, v2, v1, vcc
	global_load_dwordx4 v[0:3], v[6:7], off
	s_waitcnt vmcnt(0)
	v_mul_f64 v[4:5], s[2:3], v[2:3]
	v_mul_f64 v[8:9], s[0:1], v[2:3]
	v_fma_f64 v[2:3], s[0:1], v[0:1], -v[4:5]
	v_fma_f64 v[4:5], s[2:3], v[0:1], v[8:9]
	global_store_dwordx4 v[6:7], v[2:5], off
.LBB23_2:
	s_endpgm
	.section	.rodata,"a",@progbits
	.p2align	6, 0x0
	.amdhsa_kernel _ZL19rocblas_scal_kernelIiLi256E19rocblas_complex_numIdES1_S1_PS1_EviT3_lT4_lT_li
		.amdhsa_group_segment_fixed_size 0
		.amdhsa_private_segment_fixed_size 0
		.amdhsa_kernarg_size 68
		.amdhsa_user_sgpr_count 6
		.amdhsa_user_sgpr_private_segment_buffer 1
		.amdhsa_user_sgpr_dispatch_ptr 0
		.amdhsa_user_sgpr_queue_ptr 0
		.amdhsa_user_sgpr_kernarg_segment_ptr 1
		.amdhsa_user_sgpr_dispatch_id 0
		.amdhsa_user_sgpr_flat_scratch_init 0
		.amdhsa_user_sgpr_private_segment_size 0
		.amdhsa_uses_dynamic_stack 0
		.amdhsa_system_sgpr_private_segment_wavefront_offset 0
		.amdhsa_system_sgpr_workgroup_id_x 1
		.amdhsa_system_sgpr_workgroup_id_y 0
		.amdhsa_system_sgpr_workgroup_id_z 1
		.amdhsa_system_sgpr_workgroup_info 0
		.amdhsa_system_vgpr_workitem_id 0
		.amdhsa_next_free_vgpr 10
		.amdhsa_next_free_sgpr 15
		.amdhsa_reserve_vcc 1
		.amdhsa_reserve_flat_scratch 0
		.amdhsa_float_round_mode_32 0
		.amdhsa_float_round_mode_16_64 0
		.amdhsa_float_denorm_mode_32 3
		.amdhsa_float_denorm_mode_16_64 3
		.amdhsa_dx10_clamp 1
		.amdhsa_ieee_mode 1
		.amdhsa_fp16_overflow 0
		.amdhsa_exception_fp_ieee_invalid_op 0
		.amdhsa_exception_fp_denorm_src 0
		.amdhsa_exception_fp_ieee_div_zero 0
		.amdhsa_exception_fp_ieee_overflow 0
		.amdhsa_exception_fp_ieee_underflow 0
		.amdhsa_exception_fp_ieee_inexact 0
		.amdhsa_exception_int_div_zero 0
	.end_amdhsa_kernel
	.section	.text._ZL19rocblas_scal_kernelIiLi256E19rocblas_complex_numIdES1_S1_PS1_EviT3_lT4_lT_li,"axG",@progbits,_ZL19rocblas_scal_kernelIiLi256E19rocblas_complex_numIdES1_S1_PS1_EviT3_lT4_lT_li,comdat
.Lfunc_end23:
	.size	_ZL19rocblas_scal_kernelIiLi256E19rocblas_complex_numIdES1_S1_PS1_EviT3_lT4_lT_li, .Lfunc_end23-_ZL19rocblas_scal_kernelIiLi256E19rocblas_complex_numIdES1_S1_PS1_EviT3_lT4_lT_li
                                        ; -- End function
	.set _ZL19rocblas_scal_kernelIiLi256E19rocblas_complex_numIdES1_S1_PS1_EviT3_lT4_lT_li.num_vgpr, 10
	.set _ZL19rocblas_scal_kernelIiLi256E19rocblas_complex_numIdES1_S1_PS1_EviT3_lT4_lT_li.num_agpr, 0
	.set _ZL19rocblas_scal_kernelIiLi256E19rocblas_complex_numIdES1_S1_PS1_EviT3_lT4_lT_li.numbered_sgpr, 15
	.set _ZL19rocblas_scal_kernelIiLi256E19rocblas_complex_numIdES1_S1_PS1_EviT3_lT4_lT_li.num_named_barrier, 0
	.set _ZL19rocblas_scal_kernelIiLi256E19rocblas_complex_numIdES1_S1_PS1_EviT3_lT4_lT_li.private_seg_size, 0
	.set _ZL19rocblas_scal_kernelIiLi256E19rocblas_complex_numIdES1_S1_PS1_EviT3_lT4_lT_li.uses_vcc, 1
	.set _ZL19rocblas_scal_kernelIiLi256E19rocblas_complex_numIdES1_S1_PS1_EviT3_lT4_lT_li.uses_flat_scratch, 0
	.set _ZL19rocblas_scal_kernelIiLi256E19rocblas_complex_numIdES1_S1_PS1_EviT3_lT4_lT_li.has_dyn_sized_stack, 0
	.set _ZL19rocblas_scal_kernelIiLi256E19rocblas_complex_numIdES1_S1_PS1_EviT3_lT4_lT_li.has_recursion, 0
	.set _ZL19rocblas_scal_kernelIiLi256E19rocblas_complex_numIdES1_S1_PS1_EviT3_lT4_lT_li.has_indirect_call, 0
	.section	.AMDGPU.csdata,"",@progbits
; Kernel info:
; codeLenInByte = 228
; TotalNumSgprs: 19
; NumVgprs: 10
; ScratchSize: 0
; MemoryBound: 0
; FloatMode: 240
; IeeeMode: 1
; LDSByteSize: 0 bytes/workgroup (compile time only)
; SGPRBlocks: 2
; VGPRBlocks: 2
; NumSGPRsForWavesPerEU: 19
; NumVGPRsForWavesPerEU: 10
; Occupancy: 10
; WaveLimiterHint : 0
; COMPUTE_PGM_RSRC2:SCRATCH_EN: 0
; COMPUTE_PGM_RSRC2:USER_SGPR: 6
; COMPUTE_PGM_RSRC2:TRAP_HANDLER: 0
; COMPUTE_PGM_RSRC2:TGID_X_EN: 1
; COMPUTE_PGM_RSRC2:TGID_Y_EN: 0
; COMPUTE_PGM_RSRC2:TGID_Z_EN: 1
; COMPUTE_PGM_RSRC2:TIDIG_COMP_CNT: 0
	.section	.text._ZL19rocblas_scal_kernelIlLi256E19rocblas_complex_numIdES1_PKS1_PS1_EviT3_lT4_lT_li,"axG",@progbits,_ZL19rocblas_scal_kernelIlLi256E19rocblas_complex_numIdES1_PKS1_PS1_EviT3_lT4_lT_li,comdat
	.globl	_ZL19rocblas_scal_kernelIlLi256E19rocblas_complex_numIdES1_PKS1_PS1_EviT3_lT4_lT_li ; -- Begin function _ZL19rocblas_scal_kernelIlLi256E19rocblas_complex_numIdES1_PKS1_PS1_EviT3_lT4_lT_li
	.p2align	8
	.type	_ZL19rocblas_scal_kernelIlLi256E19rocblas_complex_numIdES1_PKS1_PS1_EviT3_lT4_lT_li,@function
_ZL19rocblas_scal_kernelIlLi256E19rocblas_complex_numIdES1_PKS1_PS1_EviT3_lT4_lT_li: ; @_ZL19rocblas_scal_kernelIlLi256E19rocblas_complex_numIdES1_PKS1_PS1_EviT3_lT4_lT_li
; %bb.0:
	s_load_dwordx8 s[8:15], s[4:5], 0x8
	s_load_dword s16, s[4:5], 0x0
	v_lshl_or_b32 v0, s6, 8, v0
	s_waitcnt lgkmcnt(0)
	s_mul_i32 s0, s11, s7
	s_mul_hi_u32 s1, s10, s7
	s_add_i32 s1, s1, s0
	s_mul_i32 s0, s10, s7
	s_lshl_b64 s[0:1], s[0:1], 4
	s_add_u32 s8, s8, s0
	s_addc_u32 s9, s9, s1
	s_load_dwordx4 s[0:3], s[8:9], 0x0
	v_cmp_gt_u32_e32 vcc, s16, v0
	s_waitcnt lgkmcnt(0)
	v_cmp_neq_f64_e64 s[8:9], s[0:1], 1.0
	v_cmp_neq_f64_e64 s[10:11], s[2:3], 0
	s_or_b64 s[8:9], s[8:9], s[10:11]
	s_and_b64 s[8:9], vcc, s[8:9]
	s_and_saveexec_b64 s[10:11], s[8:9]
	s_cbranch_execz .LBB24_2
; %bb.1:
	s_load_dwordx4 s[8:11], s[4:5], 0x28
	s_waitcnt lgkmcnt(0)
	s_mul_i32 s5, s11, s7
	s_mul_hi_u32 s11, s10, s7
	s_mul_i32 s4, s10, s7
	v_mad_u64_u32 v[1:2], s[6:7], s8, v0, 0
	s_add_i32 s5, s11, s5
	s_lshl_b64 s[4:5], s[4:5], 4
	s_add_u32 s6, s12, s4
	s_addc_u32 s7, s13, s5
	v_mad_u64_u32 v[2:3], s[4:5], s9, v0, v[2:3]
	s_lshl_b64 s[4:5], s[14:15], 4
	s_add_u32 s4, s6, s4
	v_lshlrev_b64 v[0:1], 4, v[1:2]
	s_addc_u32 s5, s7, s5
	v_mov_b32_e32 v2, s5
	v_add_co_u32_e32 v6, vcc, s4, v0
	v_addc_co_u32_e32 v7, vcc, v2, v1, vcc
	global_load_dwordx4 v[0:3], v[6:7], off
	s_waitcnt vmcnt(0)
	v_mul_f64 v[4:5], s[2:3], v[2:3]
	v_mul_f64 v[8:9], s[0:1], v[2:3]
	v_fma_f64 v[2:3], s[0:1], v[0:1], -v[4:5]
	v_fma_f64 v[4:5], s[2:3], v[0:1], v[8:9]
	global_store_dwordx4 v[6:7], v[2:5], off
.LBB24_2:
	s_endpgm
	.section	.rodata,"a",@progbits
	.p2align	6, 0x0
	.amdhsa_kernel _ZL19rocblas_scal_kernelIlLi256E19rocblas_complex_numIdES1_PKS1_PS1_EviT3_lT4_lT_li
		.amdhsa_group_segment_fixed_size 0
		.amdhsa_private_segment_fixed_size 0
		.amdhsa_kernarg_size 60
		.amdhsa_user_sgpr_count 6
		.amdhsa_user_sgpr_private_segment_buffer 1
		.amdhsa_user_sgpr_dispatch_ptr 0
		.amdhsa_user_sgpr_queue_ptr 0
		.amdhsa_user_sgpr_kernarg_segment_ptr 1
		.amdhsa_user_sgpr_dispatch_id 0
		.amdhsa_user_sgpr_flat_scratch_init 0
		.amdhsa_user_sgpr_private_segment_size 0
		.amdhsa_uses_dynamic_stack 0
		.amdhsa_system_sgpr_private_segment_wavefront_offset 0
		.amdhsa_system_sgpr_workgroup_id_x 1
		.amdhsa_system_sgpr_workgroup_id_y 0
		.amdhsa_system_sgpr_workgroup_id_z 1
		.amdhsa_system_sgpr_workgroup_info 0
		.amdhsa_system_vgpr_workitem_id 0
		.amdhsa_next_free_vgpr 10
		.amdhsa_next_free_sgpr 17
		.amdhsa_reserve_vcc 1
		.amdhsa_reserve_flat_scratch 0
		.amdhsa_float_round_mode_32 0
		.amdhsa_float_round_mode_16_64 0
		.amdhsa_float_denorm_mode_32 3
		.amdhsa_float_denorm_mode_16_64 3
		.amdhsa_dx10_clamp 1
		.amdhsa_ieee_mode 1
		.amdhsa_fp16_overflow 0
		.amdhsa_exception_fp_ieee_invalid_op 0
		.amdhsa_exception_fp_denorm_src 0
		.amdhsa_exception_fp_ieee_div_zero 0
		.amdhsa_exception_fp_ieee_overflow 0
		.amdhsa_exception_fp_ieee_underflow 0
		.amdhsa_exception_fp_ieee_inexact 0
		.amdhsa_exception_int_div_zero 0
	.end_amdhsa_kernel
	.section	.text._ZL19rocblas_scal_kernelIlLi256E19rocblas_complex_numIdES1_PKS1_PS1_EviT3_lT4_lT_li,"axG",@progbits,_ZL19rocblas_scal_kernelIlLi256E19rocblas_complex_numIdES1_PKS1_PS1_EviT3_lT4_lT_li,comdat
.Lfunc_end24:
	.size	_ZL19rocblas_scal_kernelIlLi256E19rocblas_complex_numIdES1_PKS1_PS1_EviT3_lT4_lT_li, .Lfunc_end24-_ZL19rocblas_scal_kernelIlLi256E19rocblas_complex_numIdES1_PKS1_PS1_EviT3_lT4_lT_li
                                        ; -- End function
	.set _ZL19rocblas_scal_kernelIlLi256E19rocblas_complex_numIdES1_PKS1_PS1_EviT3_lT4_lT_li.num_vgpr, 10
	.set _ZL19rocblas_scal_kernelIlLi256E19rocblas_complex_numIdES1_PKS1_PS1_EviT3_lT4_lT_li.num_agpr, 0
	.set _ZL19rocblas_scal_kernelIlLi256E19rocblas_complex_numIdES1_PKS1_PS1_EviT3_lT4_lT_li.numbered_sgpr, 17
	.set _ZL19rocblas_scal_kernelIlLi256E19rocblas_complex_numIdES1_PKS1_PS1_EviT3_lT4_lT_li.num_named_barrier, 0
	.set _ZL19rocblas_scal_kernelIlLi256E19rocblas_complex_numIdES1_PKS1_PS1_EviT3_lT4_lT_li.private_seg_size, 0
	.set _ZL19rocblas_scal_kernelIlLi256E19rocblas_complex_numIdES1_PKS1_PS1_EviT3_lT4_lT_li.uses_vcc, 1
	.set _ZL19rocblas_scal_kernelIlLi256E19rocblas_complex_numIdES1_PKS1_PS1_EviT3_lT4_lT_li.uses_flat_scratch, 0
	.set _ZL19rocblas_scal_kernelIlLi256E19rocblas_complex_numIdES1_PKS1_PS1_EviT3_lT4_lT_li.has_dyn_sized_stack, 0
	.set _ZL19rocblas_scal_kernelIlLi256E19rocblas_complex_numIdES1_PKS1_PS1_EviT3_lT4_lT_li.has_recursion, 0
	.set _ZL19rocblas_scal_kernelIlLi256E19rocblas_complex_numIdES1_PKS1_PS1_EviT3_lT4_lT_li.has_indirect_call, 0
	.section	.AMDGPU.csdata,"",@progbits
; Kernel info:
; codeLenInByte = 248
; TotalNumSgprs: 21
; NumVgprs: 10
; ScratchSize: 0
; MemoryBound: 0
; FloatMode: 240
; IeeeMode: 1
; LDSByteSize: 0 bytes/workgroup (compile time only)
; SGPRBlocks: 2
; VGPRBlocks: 2
; NumSGPRsForWavesPerEU: 21
; NumVGPRsForWavesPerEU: 10
; Occupancy: 10
; WaveLimiterHint : 0
; COMPUTE_PGM_RSRC2:SCRATCH_EN: 0
; COMPUTE_PGM_RSRC2:USER_SGPR: 6
; COMPUTE_PGM_RSRC2:TRAP_HANDLER: 0
; COMPUTE_PGM_RSRC2:TGID_X_EN: 1
; COMPUTE_PGM_RSRC2:TGID_Y_EN: 0
; COMPUTE_PGM_RSRC2:TGID_Z_EN: 1
; COMPUTE_PGM_RSRC2:TIDIG_COMP_CNT: 0
	.section	.text._ZL19rocblas_scal_kernelIlLi256E19rocblas_complex_numIdES1_S1_PS1_EviT3_lT4_lT_li,"axG",@progbits,_ZL19rocblas_scal_kernelIlLi256E19rocblas_complex_numIdES1_S1_PS1_EviT3_lT4_lT_li,comdat
	.globl	_ZL19rocblas_scal_kernelIlLi256E19rocblas_complex_numIdES1_S1_PS1_EviT3_lT4_lT_li ; -- Begin function _ZL19rocblas_scal_kernelIlLi256E19rocblas_complex_numIdES1_S1_PS1_EviT3_lT4_lT_li
	.p2align	8
	.type	_ZL19rocblas_scal_kernelIlLi256E19rocblas_complex_numIdES1_S1_PS1_EviT3_lT4_lT_li,@function
_ZL19rocblas_scal_kernelIlLi256E19rocblas_complex_numIdES1_S1_PS1_EviT3_lT4_lT_li: ; @_ZL19rocblas_scal_kernelIlLi256E19rocblas_complex_numIdES1_S1_PS1_EviT3_lT4_lT_li
; %bb.0:
	s_load_dwordx4 s[0:3], s[4:5], 0x8
	s_load_dword s12, s[4:5], 0x0
	v_lshl_or_b32 v0, s6, 8, v0
	s_waitcnt lgkmcnt(0)
	v_cmp_neq_f64_e64 s[8:9], s[0:1], 1.0
	v_cmp_neq_f64_e64 s[10:11], s[2:3], 0
	v_cmp_gt_u32_e32 vcc, s12, v0
	s_or_b64 s[8:9], s[8:9], s[10:11]
	s_and_b64 s[8:9], vcc, s[8:9]
	s_and_saveexec_b64 s[10:11], s[8:9]
	s_cbranch_execz .LBB25_2
; %bb.1:
	s_load_dwordx8 s[8:15], s[4:5], 0x20
	s_waitcnt lgkmcnt(0)
	s_mul_i32 s5, s15, s7
	s_mul_hi_u32 s15, s14, s7
	s_mul_i32 s4, s14, s7
	v_mad_u64_u32 v[1:2], s[6:7], s12, v0, 0
	s_add_i32 s5, s15, s5
	s_lshl_b64 s[4:5], s[4:5], 4
	s_add_u32 s6, s8, s4
	s_addc_u32 s7, s9, s5
	v_mad_u64_u32 v[2:3], s[4:5], s13, v0, v[2:3]
	s_lshl_b64 s[4:5], s[10:11], 4
	s_add_u32 s4, s6, s4
	v_lshlrev_b64 v[0:1], 4, v[1:2]
	s_addc_u32 s5, s7, s5
	v_mov_b32_e32 v2, s5
	v_add_co_u32_e32 v6, vcc, s4, v0
	v_addc_co_u32_e32 v7, vcc, v2, v1, vcc
	global_load_dwordx4 v[0:3], v[6:7], off
	s_waitcnt vmcnt(0)
	v_mul_f64 v[4:5], s[2:3], v[2:3]
	v_mul_f64 v[8:9], s[0:1], v[2:3]
	v_fma_f64 v[2:3], s[0:1], v[0:1], -v[4:5]
	v_fma_f64 v[4:5], s[2:3], v[0:1], v[8:9]
	global_store_dwordx4 v[6:7], v[2:5], off
.LBB25_2:
	s_endpgm
	.section	.rodata,"a",@progbits
	.p2align	6, 0x0
	.amdhsa_kernel _ZL19rocblas_scal_kernelIlLi256E19rocblas_complex_numIdES1_S1_PS1_EviT3_lT4_lT_li
		.amdhsa_group_segment_fixed_size 0
		.amdhsa_private_segment_fixed_size 0
		.amdhsa_kernarg_size 68
		.amdhsa_user_sgpr_count 6
		.amdhsa_user_sgpr_private_segment_buffer 1
		.amdhsa_user_sgpr_dispatch_ptr 0
		.amdhsa_user_sgpr_queue_ptr 0
		.amdhsa_user_sgpr_kernarg_segment_ptr 1
		.amdhsa_user_sgpr_dispatch_id 0
		.amdhsa_user_sgpr_flat_scratch_init 0
		.amdhsa_user_sgpr_private_segment_size 0
		.amdhsa_uses_dynamic_stack 0
		.amdhsa_system_sgpr_private_segment_wavefront_offset 0
		.amdhsa_system_sgpr_workgroup_id_x 1
		.amdhsa_system_sgpr_workgroup_id_y 0
		.amdhsa_system_sgpr_workgroup_id_z 1
		.amdhsa_system_sgpr_workgroup_info 0
		.amdhsa_system_vgpr_workitem_id 0
		.amdhsa_next_free_vgpr 10
		.amdhsa_next_free_sgpr 16
		.amdhsa_reserve_vcc 1
		.amdhsa_reserve_flat_scratch 0
		.amdhsa_float_round_mode_32 0
		.amdhsa_float_round_mode_16_64 0
		.amdhsa_float_denorm_mode_32 3
		.amdhsa_float_denorm_mode_16_64 3
		.amdhsa_dx10_clamp 1
		.amdhsa_ieee_mode 1
		.amdhsa_fp16_overflow 0
		.amdhsa_exception_fp_ieee_invalid_op 0
		.amdhsa_exception_fp_denorm_src 0
		.amdhsa_exception_fp_ieee_div_zero 0
		.amdhsa_exception_fp_ieee_overflow 0
		.amdhsa_exception_fp_ieee_underflow 0
		.amdhsa_exception_fp_ieee_inexact 0
		.amdhsa_exception_int_div_zero 0
	.end_amdhsa_kernel
	.section	.text._ZL19rocblas_scal_kernelIlLi256E19rocblas_complex_numIdES1_S1_PS1_EviT3_lT4_lT_li,"axG",@progbits,_ZL19rocblas_scal_kernelIlLi256E19rocblas_complex_numIdES1_S1_PS1_EviT3_lT4_lT_li,comdat
.Lfunc_end25:
	.size	_ZL19rocblas_scal_kernelIlLi256E19rocblas_complex_numIdES1_S1_PS1_EviT3_lT4_lT_li, .Lfunc_end25-_ZL19rocblas_scal_kernelIlLi256E19rocblas_complex_numIdES1_S1_PS1_EviT3_lT4_lT_li
                                        ; -- End function
	.set _ZL19rocblas_scal_kernelIlLi256E19rocblas_complex_numIdES1_S1_PS1_EviT3_lT4_lT_li.num_vgpr, 10
	.set _ZL19rocblas_scal_kernelIlLi256E19rocblas_complex_numIdES1_S1_PS1_EviT3_lT4_lT_li.num_agpr, 0
	.set _ZL19rocblas_scal_kernelIlLi256E19rocblas_complex_numIdES1_S1_PS1_EviT3_lT4_lT_li.numbered_sgpr, 16
	.set _ZL19rocblas_scal_kernelIlLi256E19rocblas_complex_numIdES1_S1_PS1_EviT3_lT4_lT_li.num_named_barrier, 0
	.set _ZL19rocblas_scal_kernelIlLi256E19rocblas_complex_numIdES1_S1_PS1_EviT3_lT4_lT_li.private_seg_size, 0
	.set _ZL19rocblas_scal_kernelIlLi256E19rocblas_complex_numIdES1_S1_PS1_EviT3_lT4_lT_li.uses_vcc, 1
	.set _ZL19rocblas_scal_kernelIlLi256E19rocblas_complex_numIdES1_S1_PS1_EviT3_lT4_lT_li.uses_flat_scratch, 0
	.set _ZL19rocblas_scal_kernelIlLi256E19rocblas_complex_numIdES1_S1_PS1_EviT3_lT4_lT_li.has_dyn_sized_stack, 0
	.set _ZL19rocblas_scal_kernelIlLi256E19rocblas_complex_numIdES1_S1_PS1_EviT3_lT4_lT_li.has_recursion, 0
	.set _ZL19rocblas_scal_kernelIlLi256E19rocblas_complex_numIdES1_S1_PS1_EviT3_lT4_lT_li.has_indirect_call, 0
	.section	.AMDGPU.csdata,"",@progbits
; Kernel info:
; codeLenInByte = 208
; TotalNumSgprs: 20
; NumVgprs: 10
; ScratchSize: 0
; MemoryBound: 0
; FloatMode: 240
; IeeeMode: 1
; LDSByteSize: 0 bytes/workgroup (compile time only)
; SGPRBlocks: 2
; VGPRBlocks: 2
; NumSGPRsForWavesPerEU: 20
; NumVGPRsForWavesPerEU: 10
; Occupancy: 10
; WaveLimiterHint : 0
; COMPUTE_PGM_RSRC2:SCRATCH_EN: 0
; COMPUTE_PGM_RSRC2:USER_SGPR: 6
; COMPUTE_PGM_RSRC2:TRAP_HANDLER: 0
; COMPUTE_PGM_RSRC2:TGID_X_EN: 1
; COMPUTE_PGM_RSRC2:TGID_Y_EN: 0
; COMPUTE_PGM_RSRC2:TGID_Z_EN: 1
; COMPUTE_PGM_RSRC2:TIDIG_COMP_CNT: 0
	.section	.text._ZL22rocblas_sscal_2_kernelILi256E19rocblas_complex_numIfES1_PKfPS1_EviT2_lT3_lli,"axG",@progbits,_ZL22rocblas_sscal_2_kernelILi256E19rocblas_complex_numIfES1_PKfPS1_EviT2_lT3_lli,comdat
	.globl	_ZL22rocblas_sscal_2_kernelILi256E19rocblas_complex_numIfES1_PKfPS1_EviT2_lT3_lli ; -- Begin function _ZL22rocblas_sscal_2_kernelILi256E19rocblas_complex_numIfES1_PKfPS1_EviT2_lT3_lli
	.p2align	8
	.type	_ZL22rocblas_sscal_2_kernelILi256E19rocblas_complex_numIfES1_PKfPS1_EviT2_lT3_lli,@function
_ZL22rocblas_sscal_2_kernelILi256E19rocblas_complex_numIfES1_PKfPS1_EviT2_lT3_lli: ; @_ZL22rocblas_sscal_2_kernelILi256E19rocblas_complex_numIfES1_PKfPS1_EviT2_lT3_lli
; %bb.0:
	s_load_dwordx4 s[0:3], s[4:5], 0x8
	s_waitcnt lgkmcnt(0)
	s_mul_i32 s3, s3, s7
	s_mul_hi_u32 s8, s2, s7
	s_add_i32 s3, s8, s3
	s_mul_i32 s2, s2, s7
	s_lshl_b64 s[2:3], s[2:3], 2
	s_add_u32 s0, s0, s2
	s_addc_u32 s1, s1, s3
	s_load_dword s2, s[0:1], 0x0
	s_waitcnt lgkmcnt(0)
	v_cmp_eq_f32_e64 s[0:1], s2, 1.0
	s_and_b64 vcc, exec, s[0:1]
	s_cbranch_vccnz .LBB26_5
; %bb.1:
	s_load_dwordx4 s[8:11], s[4:5], 0x20
	s_load_dwordx2 s[0:1], s[4:5], 0x18
	s_load_dword s3, s[4:5], 0x0
	v_lshlrev_b32_e32 v0, 1, v0
	v_lshl_or_b32 v0, s6, 9, v0
	s_waitcnt lgkmcnt(0)
	s_mul_i32 s4, s11, s7
	s_mul_hi_u32 s5, s10, s7
	s_add_i32 s5, s5, s4
	s_mul_i32 s4, s10, s7
	s_lshl_b64 s[4:5], s[4:5], 3
	s_add_u32 s4, s0, s4
	s_addc_u32 s5, s1, s5
	s_lshl_b64 s[0:1], s[8:9], 3
	s_add_u32 s4, s4, s0
	v_or_b32_e32 v1, 1, v0
	s_addc_u32 s5, s5, s1
	v_cmp_gt_u32_e32 vcc, s3, v1
	s_and_saveexec_b64 s[0:1], vcc
	s_cbranch_execz .LBB26_3
; %bb.2:
	v_mov_b32_e32 v1, 0
	v_lshlrev_b64 v[1:2], 3, v[0:1]
	v_mov_b32_e32 v3, s5
	v_add_co_u32_e32 v8, vcc, s4, v1
	v_addc_co_u32_e32 v9, vcc, v3, v2, vcc
	global_load_dwordx4 v[1:4], v[8:9], off
	s_waitcnt vmcnt(0)
	v_mul_f32_e32 v6, 0, v2
	v_mul_f32_e32 v5, s2, v2
	;; [unrolled: 1-line block ×4, first 2 shown]
	v_fma_f32 v4, s2, v1, -v6
	v_fmac_f32_e32 v5, 0, v1
	v_fma_f32 v6, s2, v3, -v2
	v_fmac_f32_e32 v7, 0, v3
	global_store_dwordx4 v[8:9], v[4:7], off
.LBB26_3:
	s_or_b64 exec, exec, s[0:1]
	s_bitcmp1_b32 s3, 0
	s_cselect_b64 s[0:1], -1, 0
	s_add_i32 s3, s3, -1
	v_cmp_eq_u32_e32 vcc, s3, v0
	s_and_b64 s[0:1], s[0:1], vcc
	s_and_saveexec_b64 s[6:7], s[0:1]
	s_cbranch_execz .LBB26_5
; %bb.4:
	v_mov_b32_e32 v1, 0
	v_lshlrev_b64 v[0:1], 3, v[0:1]
	v_mov_b32_e32 v2, s5
	v_add_co_u32_e32 v0, vcc, s4, v0
	v_addc_co_u32_e32 v1, vcc, v2, v1, vcc
	global_load_dwordx2 v[2:3], v[0:1], off
	s_waitcnt vmcnt(0)
	v_mul_f32_e32 v5, 0, v3
	v_mul_f32_e32 v4, s2, v3
	v_fma_f32 v3, s2, v2, -v5
	v_fmac_f32_e32 v4, 0, v2
	global_store_dwordx2 v[0:1], v[3:4], off
.LBB26_5:
	s_endpgm
	.section	.rodata,"a",@progbits
	.p2align	6, 0x0
	.amdhsa_kernel _ZL22rocblas_sscal_2_kernelILi256E19rocblas_complex_numIfES1_PKfPS1_EviT2_lT3_lli
		.amdhsa_group_segment_fixed_size 0
		.amdhsa_private_segment_fixed_size 0
		.amdhsa_kernarg_size 52
		.amdhsa_user_sgpr_count 6
		.amdhsa_user_sgpr_private_segment_buffer 1
		.amdhsa_user_sgpr_dispatch_ptr 0
		.amdhsa_user_sgpr_queue_ptr 0
		.amdhsa_user_sgpr_kernarg_segment_ptr 1
		.amdhsa_user_sgpr_dispatch_id 0
		.amdhsa_user_sgpr_flat_scratch_init 0
		.amdhsa_user_sgpr_private_segment_size 0
		.amdhsa_uses_dynamic_stack 0
		.amdhsa_system_sgpr_private_segment_wavefront_offset 0
		.amdhsa_system_sgpr_workgroup_id_x 1
		.amdhsa_system_sgpr_workgroup_id_y 0
		.amdhsa_system_sgpr_workgroup_id_z 1
		.amdhsa_system_sgpr_workgroup_info 0
		.amdhsa_system_vgpr_workitem_id 0
		.amdhsa_next_free_vgpr 10
		.amdhsa_next_free_sgpr 12
		.amdhsa_reserve_vcc 1
		.amdhsa_reserve_flat_scratch 0
		.amdhsa_float_round_mode_32 0
		.amdhsa_float_round_mode_16_64 0
		.amdhsa_float_denorm_mode_32 3
		.amdhsa_float_denorm_mode_16_64 3
		.amdhsa_dx10_clamp 1
		.amdhsa_ieee_mode 1
		.amdhsa_fp16_overflow 0
		.amdhsa_exception_fp_ieee_invalid_op 0
		.amdhsa_exception_fp_denorm_src 0
		.amdhsa_exception_fp_ieee_div_zero 0
		.amdhsa_exception_fp_ieee_overflow 0
		.amdhsa_exception_fp_ieee_underflow 0
		.amdhsa_exception_fp_ieee_inexact 0
		.amdhsa_exception_int_div_zero 0
	.end_amdhsa_kernel
	.section	.text._ZL22rocblas_sscal_2_kernelILi256E19rocblas_complex_numIfES1_PKfPS1_EviT2_lT3_lli,"axG",@progbits,_ZL22rocblas_sscal_2_kernelILi256E19rocblas_complex_numIfES1_PKfPS1_EviT2_lT3_lli,comdat
.Lfunc_end26:
	.size	_ZL22rocblas_sscal_2_kernelILi256E19rocblas_complex_numIfES1_PKfPS1_EviT2_lT3_lli, .Lfunc_end26-_ZL22rocblas_sscal_2_kernelILi256E19rocblas_complex_numIfES1_PKfPS1_EviT2_lT3_lli
                                        ; -- End function
	.set _ZL22rocblas_sscal_2_kernelILi256E19rocblas_complex_numIfES1_PKfPS1_EviT2_lT3_lli.num_vgpr, 10
	.set _ZL22rocblas_sscal_2_kernelILi256E19rocblas_complex_numIfES1_PKfPS1_EviT2_lT3_lli.num_agpr, 0
	.set _ZL22rocblas_sscal_2_kernelILi256E19rocblas_complex_numIfES1_PKfPS1_EviT2_lT3_lli.numbered_sgpr, 12
	.set _ZL22rocblas_sscal_2_kernelILi256E19rocblas_complex_numIfES1_PKfPS1_EviT2_lT3_lli.num_named_barrier, 0
	.set _ZL22rocblas_sscal_2_kernelILi256E19rocblas_complex_numIfES1_PKfPS1_EviT2_lT3_lli.private_seg_size, 0
	.set _ZL22rocblas_sscal_2_kernelILi256E19rocblas_complex_numIfES1_PKfPS1_EviT2_lT3_lli.uses_vcc, 1
	.set _ZL22rocblas_sscal_2_kernelILi256E19rocblas_complex_numIfES1_PKfPS1_EviT2_lT3_lli.uses_flat_scratch, 0
	.set _ZL22rocblas_sscal_2_kernelILi256E19rocblas_complex_numIfES1_PKfPS1_EviT2_lT3_lli.has_dyn_sized_stack, 0
	.set _ZL22rocblas_sscal_2_kernelILi256E19rocblas_complex_numIfES1_PKfPS1_EviT2_lT3_lli.has_recursion, 0
	.set _ZL22rocblas_sscal_2_kernelILi256E19rocblas_complex_numIfES1_PKfPS1_EviT2_lT3_lli.has_indirect_call, 0
	.section	.AMDGPU.csdata,"",@progbits
; Kernel info:
; codeLenInByte = 348
; TotalNumSgprs: 16
; NumVgprs: 10
; ScratchSize: 0
; MemoryBound: 0
; FloatMode: 240
; IeeeMode: 1
; LDSByteSize: 0 bytes/workgroup (compile time only)
; SGPRBlocks: 1
; VGPRBlocks: 2
; NumSGPRsForWavesPerEU: 16
; NumVGPRsForWavesPerEU: 10
; Occupancy: 10
; WaveLimiterHint : 0
; COMPUTE_PGM_RSRC2:SCRATCH_EN: 0
; COMPUTE_PGM_RSRC2:USER_SGPR: 6
; COMPUTE_PGM_RSRC2:TRAP_HANDLER: 0
; COMPUTE_PGM_RSRC2:TGID_X_EN: 1
; COMPUTE_PGM_RSRC2:TGID_Y_EN: 0
; COMPUTE_PGM_RSRC2:TGID_Z_EN: 1
; COMPUTE_PGM_RSRC2:TIDIG_COMP_CNT: 0
	.section	.text._ZL22rocblas_sscal_2_kernelILi256E19rocblas_complex_numIfES1_fPS1_EviT2_lT3_lli,"axG",@progbits,_ZL22rocblas_sscal_2_kernelILi256E19rocblas_complex_numIfES1_fPS1_EviT2_lT3_lli,comdat
	.globl	_ZL22rocblas_sscal_2_kernelILi256E19rocblas_complex_numIfES1_fPS1_EviT2_lT3_lli ; -- Begin function _ZL22rocblas_sscal_2_kernelILi256E19rocblas_complex_numIfES1_fPS1_EviT2_lT3_lli
	.p2align	8
	.type	_ZL22rocblas_sscal_2_kernelILi256E19rocblas_complex_numIfES1_fPS1_EviT2_lT3_lli,@function
_ZL22rocblas_sscal_2_kernelILi256E19rocblas_complex_numIfES1_fPS1_EviT2_lT3_lli: ; @_ZL22rocblas_sscal_2_kernelILi256E19rocblas_complex_numIfES1_fPS1_EviT2_lT3_lli
; %bb.0:
	s_load_dwordx2 s[0:1], s[4:5], 0x0
	s_waitcnt lgkmcnt(0)
	v_cmp_eq_f32_e64 s[2:3], s1, 1.0
	s_and_b64 vcc, exec, s[2:3]
	s_cbranch_vccnz .LBB27_5
; %bb.1:
	s_load_dwordx4 s[8:11], s[4:5], 0x18
	s_load_dwordx2 s[2:3], s[4:5], 0x10
	v_lshlrev_b32_e32 v0, 1, v0
	v_lshl_or_b32 v0, s6, 9, v0
	v_or_b32_e32 v1, 1, v0
	s_waitcnt lgkmcnt(0)
	s_mul_i32 s4, s11, s7
	s_mul_hi_u32 s5, s10, s7
	s_add_i32 s5, s5, s4
	s_mul_i32 s4, s10, s7
	s_lshl_b64 s[4:5], s[4:5], 3
	s_add_u32 s4, s2, s4
	s_addc_u32 s5, s3, s5
	s_lshl_b64 s[2:3], s[8:9], 3
	s_add_u32 s4, s4, s2
	s_addc_u32 s5, s5, s3
	v_cmp_gt_u32_e32 vcc, s0, v1
	s_and_saveexec_b64 s[2:3], vcc
	s_cbranch_execz .LBB27_3
; %bb.2:
	v_mov_b32_e32 v1, 0
	v_lshlrev_b64 v[1:2], 3, v[0:1]
	v_mov_b32_e32 v3, s5
	v_add_co_u32_e32 v8, vcc, s4, v1
	v_addc_co_u32_e32 v9, vcc, v3, v2, vcc
	global_load_dwordx4 v[1:4], v[8:9], off
	s_waitcnt vmcnt(0)
	v_mul_f32_e32 v6, 0, v2
	v_mul_f32_e32 v5, s1, v2
	;; [unrolled: 1-line block ×4, first 2 shown]
	v_fma_f32 v4, s1, v1, -v6
	v_fmac_f32_e32 v5, 0, v1
	v_fma_f32 v6, s1, v3, -v2
	v_fmac_f32_e32 v7, 0, v3
	global_store_dwordx4 v[8:9], v[4:7], off
.LBB27_3:
	s_or_b64 exec, exec, s[2:3]
	s_bitcmp1_b32 s0, 0
	s_cselect_b64 s[2:3], -1, 0
	s_add_i32 s0, s0, -1
	v_cmp_eq_u32_e32 vcc, s0, v0
	s_and_b64 s[2:3], s[2:3], vcc
	s_and_saveexec_b64 s[6:7], s[2:3]
	s_cbranch_execz .LBB27_5
; %bb.4:
	v_mov_b32_e32 v1, 0
	v_lshlrev_b64 v[0:1], 3, v[0:1]
	v_mov_b32_e32 v2, s5
	v_add_co_u32_e32 v0, vcc, s4, v0
	v_addc_co_u32_e32 v1, vcc, v2, v1, vcc
	global_load_dwordx2 v[2:3], v[0:1], off
	s_waitcnt vmcnt(0)
	v_mul_f32_e32 v5, 0, v3
	v_mul_f32_e32 v4, s1, v3
	v_fma_f32 v3, s1, v2, -v5
	v_fmac_f32_e32 v4, 0, v2
	global_store_dwordx2 v[0:1], v[3:4], off
.LBB27_5:
	s_endpgm
	.section	.rodata,"a",@progbits
	.p2align	6, 0x0
	.amdhsa_kernel _ZL22rocblas_sscal_2_kernelILi256E19rocblas_complex_numIfES1_fPS1_EviT2_lT3_lli
		.amdhsa_group_segment_fixed_size 0
		.amdhsa_private_segment_fixed_size 0
		.amdhsa_kernarg_size 44
		.amdhsa_user_sgpr_count 6
		.amdhsa_user_sgpr_private_segment_buffer 1
		.amdhsa_user_sgpr_dispatch_ptr 0
		.amdhsa_user_sgpr_queue_ptr 0
		.amdhsa_user_sgpr_kernarg_segment_ptr 1
		.amdhsa_user_sgpr_dispatch_id 0
		.amdhsa_user_sgpr_flat_scratch_init 0
		.amdhsa_user_sgpr_private_segment_size 0
		.amdhsa_uses_dynamic_stack 0
		.amdhsa_system_sgpr_private_segment_wavefront_offset 0
		.amdhsa_system_sgpr_workgroup_id_x 1
		.amdhsa_system_sgpr_workgroup_id_y 0
		.amdhsa_system_sgpr_workgroup_id_z 1
		.amdhsa_system_sgpr_workgroup_info 0
		.amdhsa_system_vgpr_workitem_id 0
		.amdhsa_next_free_vgpr 10
		.amdhsa_next_free_sgpr 12
		.amdhsa_reserve_vcc 1
		.amdhsa_reserve_flat_scratch 0
		.amdhsa_float_round_mode_32 0
		.amdhsa_float_round_mode_16_64 0
		.amdhsa_float_denorm_mode_32 3
		.amdhsa_float_denorm_mode_16_64 3
		.amdhsa_dx10_clamp 1
		.amdhsa_ieee_mode 1
		.amdhsa_fp16_overflow 0
		.amdhsa_exception_fp_ieee_invalid_op 0
		.amdhsa_exception_fp_denorm_src 0
		.amdhsa_exception_fp_ieee_div_zero 0
		.amdhsa_exception_fp_ieee_overflow 0
		.amdhsa_exception_fp_ieee_underflow 0
		.amdhsa_exception_fp_ieee_inexact 0
		.amdhsa_exception_int_div_zero 0
	.end_amdhsa_kernel
	.section	.text._ZL22rocblas_sscal_2_kernelILi256E19rocblas_complex_numIfES1_fPS1_EviT2_lT3_lli,"axG",@progbits,_ZL22rocblas_sscal_2_kernelILi256E19rocblas_complex_numIfES1_fPS1_EviT2_lT3_lli,comdat
.Lfunc_end27:
	.size	_ZL22rocblas_sscal_2_kernelILi256E19rocblas_complex_numIfES1_fPS1_EviT2_lT3_lli, .Lfunc_end27-_ZL22rocblas_sscal_2_kernelILi256E19rocblas_complex_numIfES1_fPS1_EviT2_lT3_lli
                                        ; -- End function
	.set _ZL22rocblas_sscal_2_kernelILi256E19rocblas_complex_numIfES1_fPS1_EviT2_lT3_lli.num_vgpr, 10
	.set _ZL22rocblas_sscal_2_kernelILi256E19rocblas_complex_numIfES1_fPS1_EviT2_lT3_lli.num_agpr, 0
	.set _ZL22rocblas_sscal_2_kernelILi256E19rocblas_complex_numIfES1_fPS1_EviT2_lT3_lli.numbered_sgpr, 12
	.set _ZL22rocblas_sscal_2_kernelILi256E19rocblas_complex_numIfES1_fPS1_EviT2_lT3_lli.num_named_barrier, 0
	.set _ZL22rocblas_sscal_2_kernelILi256E19rocblas_complex_numIfES1_fPS1_EviT2_lT3_lli.private_seg_size, 0
	.set _ZL22rocblas_sscal_2_kernelILi256E19rocblas_complex_numIfES1_fPS1_EviT2_lT3_lli.uses_vcc, 1
	.set _ZL22rocblas_sscal_2_kernelILi256E19rocblas_complex_numIfES1_fPS1_EviT2_lT3_lli.uses_flat_scratch, 0
	.set _ZL22rocblas_sscal_2_kernelILi256E19rocblas_complex_numIfES1_fPS1_EviT2_lT3_lli.has_dyn_sized_stack, 0
	.set _ZL22rocblas_sscal_2_kernelILi256E19rocblas_complex_numIfES1_fPS1_EviT2_lT3_lli.has_recursion, 0
	.set _ZL22rocblas_sscal_2_kernelILi256E19rocblas_complex_numIfES1_fPS1_EviT2_lT3_lli.has_indirect_call, 0
	.section	.AMDGPU.csdata,"",@progbits
; Kernel info:
; codeLenInByte = 300
; TotalNumSgprs: 16
; NumVgprs: 10
; ScratchSize: 0
; MemoryBound: 0
; FloatMode: 240
; IeeeMode: 1
; LDSByteSize: 0 bytes/workgroup (compile time only)
; SGPRBlocks: 1
; VGPRBlocks: 2
; NumSGPRsForWavesPerEU: 16
; NumVGPRsForWavesPerEU: 10
; Occupancy: 10
; WaveLimiterHint : 0
; COMPUTE_PGM_RSRC2:SCRATCH_EN: 0
; COMPUTE_PGM_RSRC2:USER_SGPR: 6
; COMPUTE_PGM_RSRC2:TRAP_HANDLER: 0
; COMPUTE_PGM_RSRC2:TGID_X_EN: 1
; COMPUTE_PGM_RSRC2:TGID_Y_EN: 0
; COMPUTE_PGM_RSRC2:TGID_Z_EN: 1
; COMPUTE_PGM_RSRC2:TIDIG_COMP_CNT: 0
	.section	.text._ZL19rocblas_scal_kernelIiLi256E19rocblas_complex_numIfES1_PKfPS1_EviT3_lT4_lT_li,"axG",@progbits,_ZL19rocblas_scal_kernelIiLi256E19rocblas_complex_numIfES1_PKfPS1_EviT3_lT4_lT_li,comdat
	.globl	_ZL19rocblas_scal_kernelIiLi256E19rocblas_complex_numIfES1_PKfPS1_EviT3_lT4_lT_li ; -- Begin function _ZL19rocblas_scal_kernelIiLi256E19rocblas_complex_numIfES1_PKfPS1_EviT3_lT4_lT_li
	.p2align	8
	.type	_ZL19rocblas_scal_kernelIiLi256E19rocblas_complex_numIfES1_PKfPS1_EviT3_lT4_lT_li,@function
_ZL19rocblas_scal_kernelIiLi256E19rocblas_complex_numIfES1_PKfPS1_EviT3_lT4_lT_li: ; @_ZL19rocblas_scal_kernelIiLi256E19rocblas_complex_numIfES1_PKfPS1_EviT3_lT4_lT_li
; %bb.0:
	s_load_dwordx8 s[8:15], s[4:5], 0x8
	v_lshl_or_b32 v0, s6, 8, v0
	s_waitcnt lgkmcnt(0)
	s_mul_i32 s0, s11, s7
	s_mul_hi_u32 s1, s10, s7
	s_add_i32 s1, s1, s0
	s_mul_i32 s0, s10, s7
	s_lshl_b64 s[0:1], s[0:1], 2
	s_add_u32 s2, s8, s0
	s_addc_u32 s3, s9, s1
	s_load_dword s0, s[2:3], 0x0
	s_load_dword s1, s[4:5], 0x0
	s_waitcnt lgkmcnt(0)
	v_cmp_neq_f32_e64 s[2:3], s0, 1.0
	v_cmp_gt_u32_e32 vcc, s1, v0
	s_and_b64 s[2:3], vcc, s[2:3]
	s_and_saveexec_b64 s[8:9], s[2:3]
	s_cbranch_execz .LBB28_2
; %bb.1:
	s_load_dword s1, s[4:5], 0x28
	s_load_dwordx2 s[2:3], s[4:5], 0x30
	s_waitcnt lgkmcnt(0)
	s_ashr_i32 s6, s1, 31
	s_mul_i32 s3, s3, s7
	s_mul_hi_u32 s4, s2, s7
	s_add_i32 s3, s4, s3
	v_mad_u64_u32 v[1:2], s[4:5], s1, v0, 0
	s_mul_i32 s2, s2, s7
	s_lshl_b64 s[2:3], s[2:3], 3
	s_add_u32 s1, s12, s2
	s_addc_u32 s4, s13, s3
	v_mad_u64_u32 v[2:3], s[2:3], s6, v0, v[2:3]
	s_lshl_b64 s[2:3], s[14:15], 3
	s_add_u32 s1, s1, s2
	v_lshlrev_b64 v[0:1], 3, v[1:2]
	s_addc_u32 s2, s4, s3
	v_mov_b32_e32 v2, s2
	v_add_co_u32_e32 v0, vcc, s1, v0
	v_addc_co_u32_e32 v1, vcc, v2, v1, vcc
	global_load_dwordx2 v[2:3], v[0:1], off
	s_waitcnt vmcnt(0)
	v_mul_f32_e32 v5, 0, v3
	v_mul_f32_e32 v4, s0, v3
	v_fma_f32 v3, s0, v2, -v5
	v_fmac_f32_e32 v4, 0, v2
	global_store_dwordx2 v[0:1], v[3:4], off
.LBB28_2:
	s_endpgm
	.section	.rodata,"a",@progbits
	.p2align	6, 0x0
	.amdhsa_kernel _ZL19rocblas_scal_kernelIiLi256E19rocblas_complex_numIfES1_PKfPS1_EviT3_lT4_lT_li
		.amdhsa_group_segment_fixed_size 0
		.amdhsa_private_segment_fixed_size 0
		.amdhsa_kernarg_size 60
		.amdhsa_user_sgpr_count 6
		.amdhsa_user_sgpr_private_segment_buffer 1
		.amdhsa_user_sgpr_dispatch_ptr 0
		.amdhsa_user_sgpr_queue_ptr 0
		.amdhsa_user_sgpr_kernarg_segment_ptr 1
		.amdhsa_user_sgpr_dispatch_id 0
		.amdhsa_user_sgpr_flat_scratch_init 0
		.amdhsa_user_sgpr_private_segment_size 0
		.amdhsa_uses_dynamic_stack 0
		.amdhsa_system_sgpr_private_segment_wavefront_offset 0
		.amdhsa_system_sgpr_workgroup_id_x 1
		.amdhsa_system_sgpr_workgroup_id_y 0
		.amdhsa_system_sgpr_workgroup_id_z 1
		.amdhsa_system_sgpr_workgroup_info 0
		.amdhsa_system_vgpr_workitem_id 0
		.amdhsa_next_free_vgpr 6
		.amdhsa_next_free_sgpr 16
		.amdhsa_reserve_vcc 1
		.amdhsa_reserve_flat_scratch 0
		.amdhsa_float_round_mode_32 0
		.amdhsa_float_round_mode_16_64 0
		.amdhsa_float_denorm_mode_32 3
		.amdhsa_float_denorm_mode_16_64 3
		.amdhsa_dx10_clamp 1
		.amdhsa_ieee_mode 1
		.amdhsa_fp16_overflow 0
		.amdhsa_exception_fp_ieee_invalid_op 0
		.amdhsa_exception_fp_denorm_src 0
		.amdhsa_exception_fp_ieee_div_zero 0
		.amdhsa_exception_fp_ieee_overflow 0
		.amdhsa_exception_fp_ieee_underflow 0
		.amdhsa_exception_fp_ieee_inexact 0
		.amdhsa_exception_int_div_zero 0
	.end_amdhsa_kernel
	.section	.text._ZL19rocblas_scal_kernelIiLi256E19rocblas_complex_numIfES1_PKfPS1_EviT3_lT4_lT_li,"axG",@progbits,_ZL19rocblas_scal_kernelIiLi256E19rocblas_complex_numIfES1_PKfPS1_EviT3_lT4_lT_li,comdat
.Lfunc_end28:
	.size	_ZL19rocblas_scal_kernelIiLi256E19rocblas_complex_numIfES1_PKfPS1_EviT3_lT4_lT_li, .Lfunc_end28-_ZL19rocblas_scal_kernelIiLi256E19rocblas_complex_numIfES1_PKfPS1_EviT3_lT4_lT_li
                                        ; -- End function
	.set _ZL19rocblas_scal_kernelIiLi256E19rocblas_complex_numIfES1_PKfPS1_EviT3_lT4_lT_li.num_vgpr, 6
	.set _ZL19rocblas_scal_kernelIiLi256E19rocblas_complex_numIfES1_PKfPS1_EviT3_lT4_lT_li.num_agpr, 0
	.set _ZL19rocblas_scal_kernelIiLi256E19rocblas_complex_numIfES1_PKfPS1_EviT3_lT4_lT_li.numbered_sgpr, 16
	.set _ZL19rocblas_scal_kernelIiLi256E19rocblas_complex_numIfES1_PKfPS1_EviT3_lT4_lT_li.num_named_barrier, 0
	.set _ZL19rocblas_scal_kernelIiLi256E19rocblas_complex_numIfES1_PKfPS1_EviT3_lT4_lT_li.private_seg_size, 0
	.set _ZL19rocblas_scal_kernelIiLi256E19rocblas_complex_numIfES1_PKfPS1_EviT3_lT4_lT_li.uses_vcc, 1
	.set _ZL19rocblas_scal_kernelIiLi256E19rocblas_complex_numIfES1_PKfPS1_EviT3_lT4_lT_li.uses_flat_scratch, 0
	.set _ZL19rocblas_scal_kernelIiLi256E19rocblas_complex_numIfES1_PKfPS1_EviT3_lT4_lT_li.has_dyn_sized_stack, 0
	.set _ZL19rocblas_scal_kernelIiLi256E19rocblas_complex_numIfES1_PKfPS1_EviT3_lT4_lT_li.has_recursion, 0
	.set _ZL19rocblas_scal_kernelIiLi256E19rocblas_complex_numIfES1_PKfPS1_EviT3_lT4_lT_li.has_indirect_call, 0
	.section	.AMDGPU.csdata,"",@progbits
; Kernel info:
; codeLenInByte = 236
; TotalNumSgprs: 20
; NumVgprs: 6
; ScratchSize: 0
; MemoryBound: 0
; FloatMode: 240
; IeeeMode: 1
; LDSByteSize: 0 bytes/workgroup (compile time only)
; SGPRBlocks: 2
; VGPRBlocks: 1
; NumSGPRsForWavesPerEU: 20
; NumVGPRsForWavesPerEU: 6
; Occupancy: 10
; WaveLimiterHint : 0
; COMPUTE_PGM_RSRC2:SCRATCH_EN: 0
; COMPUTE_PGM_RSRC2:USER_SGPR: 6
; COMPUTE_PGM_RSRC2:TRAP_HANDLER: 0
; COMPUTE_PGM_RSRC2:TGID_X_EN: 1
; COMPUTE_PGM_RSRC2:TGID_Y_EN: 0
; COMPUTE_PGM_RSRC2:TGID_Z_EN: 1
; COMPUTE_PGM_RSRC2:TIDIG_COMP_CNT: 0
	.section	.text._ZL19rocblas_scal_kernelIiLi256E19rocblas_complex_numIfES1_fPS1_EviT3_lT4_lT_li,"axG",@progbits,_ZL19rocblas_scal_kernelIiLi256E19rocblas_complex_numIfES1_fPS1_EviT3_lT4_lT_li,comdat
	.globl	_ZL19rocblas_scal_kernelIiLi256E19rocblas_complex_numIfES1_fPS1_EviT3_lT4_lT_li ; -- Begin function _ZL19rocblas_scal_kernelIiLi256E19rocblas_complex_numIfES1_fPS1_EviT3_lT4_lT_li
	.p2align	8
	.type	_ZL19rocblas_scal_kernelIiLi256E19rocblas_complex_numIfES1_fPS1_EviT3_lT4_lT_li,@function
_ZL19rocblas_scal_kernelIiLi256E19rocblas_complex_numIfES1_fPS1_EviT3_lT4_lT_li: ; @_ZL19rocblas_scal_kernelIiLi256E19rocblas_complex_numIfES1_fPS1_EviT3_lT4_lT_li
; %bb.0:
	s_load_dwordx2 s[0:1], s[4:5], 0x0
	v_lshl_or_b32 v0, s6, 8, v0
	s_waitcnt lgkmcnt(0)
	v_cmp_neq_f32_e64 s[2:3], s1, 1.0
	v_cmp_gt_u32_e32 vcc, s0, v0
	s_and_b64 s[2:3], vcc, s[2:3]
	s_and_saveexec_b64 s[8:9], s[2:3]
	s_cbranch_execz .LBB29_2
; %bb.1:
	s_load_dword s0, s[4:5], 0x20
	s_load_dwordx2 s[2:3], s[4:5], 0x28
	s_load_dwordx4 s[8:11], s[4:5], 0x10
	s_waitcnt lgkmcnt(0)
	s_ashr_i32 s6, s0, 31
	s_mul_i32 s3, s3, s7
	s_mul_hi_u32 s4, s2, s7
	s_add_i32 s3, s4, s3
	v_mad_u64_u32 v[1:2], s[4:5], s0, v0, 0
	s_mul_i32 s2, s2, s7
	s_lshl_b64 s[2:3], s[2:3], 3
	s_add_u32 s0, s8, s2
	s_addc_u32 s4, s9, s3
	v_mad_u64_u32 v[2:3], s[2:3], s6, v0, v[2:3]
	s_lshl_b64 s[2:3], s[10:11], 3
	s_add_u32 s0, s0, s2
	v_lshlrev_b64 v[0:1], 3, v[1:2]
	s_addc_u32 s2, s4, s3
	v_mov_b32_e32 v2, s2
	v_add_co_u32_e32 v0, vcc, s0, v0
	v_addc_co_u32_e32 v1, vcc, v2, v1, vcc
	global_load_dwordx2 v[2:3], v[0:1], off
	s_waitcnt vmcnt(0)
	v_mul_f32_e32 v5, 0, v3
	v_mul_f32_e32 v4, s1, v3
	v_fma_f32 v3, s1, v2, -v5
	v_fmac_f32_e32 v4, 0, v2
	global_store_dwordx2 v[0:1], v[3:4], off
.LBB29_2:
	s_endpgm
	.section	.rodata,"a",@progbits
	.p2align	6, 0x0
	.amdhsa_kernel _ZL19rocblas_scal_kernelIiLi256E19rocblas_complex_numIfES1_fPS1_EviT3_lT4_lT_li
		.amdhsa_group_segment_fixed_size 0
		.amdhsa_private_segment_fixed_size 0
		.amdhsa_kernarg_size 52
		.amdhsa_user_sgpr_count 6
		.amdhsa_user_sgpr_private_segment_buffer 1
		.amdhsa_user_sgpr_dispatch_ptr 0
		.amdhsa_user_sgpr_queue_ptr 0
		.amdhsa_user_sgpr_kernarg_segment_ptr 1
		.amdhsa_user_sgpr_dispatch_id 0
		.amdhsa_user_sgpr_flat_scratch_init 0
		.amdhsa_user_sgpr_private_segment_size 0
		.amdhsa_uses_dynamic_stack 0
		.amdhsa_system_sgpr_private_segment_wavefront_offset 0
		.amdhsa_system_sgpr_workgroup_id_x 1
		.amdhsa_system_sgpr_workgroup_id_y 0
		.amdhsa_system_sgpr_workgroup_id_z 1
		.amdhsa_system_sgpr_workgroup_info 0
		.amdhsa_system_vgpr_workitem_id 0
		.amdhsa_next_free_vgpr 6
		.amdhsa_next_free_sgpr 12
		.amdhsa_reserve_vcc 1
		.amdhsa_reserve_flat_scratch 0
		.amdhsa_float_round_mode_32 0
		.amdhsa_float_round_mode_16_64 0
		.amdhsa_float_denorm_mode_32 3
		.amdhsa_float_denorm_mode_16_64 3
		.amdhsa_dx10_clamp 1
		.amdhsa_ieee_mode 1
		.amdhsa_fp16_overflow 0
		.amdhsa_exception_fp_ieee_invalid_op 0
		.amdhsa_exception_fp_denorm_src 0
		.amdhsa_exception_fp_ieee_div_zero 0
		.amdhsa_exception_fp_ieee_overflow 0
		.amdhsa_exception_fp_ieee_underflow 0
		.amdhsa_exception_fp_ieee_inexact 0
		.amdhsa_exception_int_div_zero 0
	.end_amdhsa_kernel
	.section	.text._ZL19rocblas_scal_kernelIiLi256E19rocblas_complex_numIfES1_fPS1_EviT3_lT4_lT_li,"axG",@progbits,_ZL19rocblas_scal_kernelIiLi256E19rocblas_complex_numIfES1_fPS1_EviT3_lT4_lT_li,comdat
.Lfunc_end29:
	.size	_ZL19rocblas_scal_kernelIiLi256E19rocblas_complex_numIfES1_fPS1_EviT3_lT4_lT_li, .Lfunc_end29-_ZL19rocblas_scal_kernelIiLi256E19rocblas_complex_numIfES1_fPS1_EviT3_lT4_lT_li
                                        ; -- End function
	.set _ZL19rocblas_scal_kernelIiLi256E19rocblas_complex_numIfES1_fPS1_EviT3_lT4_lT_li.num_vgpr, 6
	.set _ZL19rocblas_scal_kernelIiLi256E19rocblas_complex_numIfES1_fPS1_EviT3_lT4_lT_li.num_agpr, 0
	.set _ZL19rocblas_scal_kernelIiLi256E19rocblas_complex_numIfES1_fPS1_EviT3_lT4_lT_li.numbered_sgpr, 12
	.set _ZL19rocblas_scal_kernelIiLi256E19rocblas_complex_numIfES1_fPS1_EviT3_lT4_lT_li.num_named_barrier, 0
	.set _ZL19rocblas_scal_kernelIiLi256E19rocblas_complex_numIfES1_fPS1_EviT3_lT4_lT_li.private_seg_size, 0
	.set _ZL19rocblas_scal_kernelIiLi256E19rocblas_complex_numIfES1_fPS1_EviT3_lT4_lT_li.uses_vcc, 1
	.set _ZL19rocblas_scal_kernelIiLi256E19rocblas_complex_numIfES1_fPS1_EviT3_lT4_lT_li.uses_flat_scratch, 0
	.set _ZL19rocblas_scal_kernelIiLi256E19rocblas_complex_numIfES1_fPS1_EviT3_lT4_lT_li.has_dyn_sized_stack, 0
	.set _ZL19rocblas_scal_kernelIiLi256E19rocblas_complex_numIfES1_fPS1_EviT3_lT4_lT_li.has_recursion, 0
	.set _ZL19rocblas_scal_kernelIiLi256E19rocblas_complex_numIfES1_fPS1_EviT3_lT4_lT_li.has_indirect_call, 0
	.section	.AMDGPU.csdata,"",@progbits
; Kernel info:
; codeLenInByte = 196
; TotalNumSgprs: 16
; NumVgprs: 6
; ScratchSize: 0
; MemoryBound: 0
; FloatMode: 240
; IeeeMode: 1
; LDSByteSize: 0 bytes/workgroup (compile time only)
; SGPRBlocks: 1
; VGPRBlocks: 1
; NumSGPRsForWavesPerEU: 16
; NumVGPRsForWavesPerEU: 6
; Occupancy: 10
; WaveLimiterHint : 0
; COMPUTE_PGM_RSRC2:SCRATCH_EN: 0
; COMPUTE_PGM_RSRC2:USER_SGPR: 6
; COMPUTE_PGM_RSRC2:TRAP_HANDLER: 0
; COMPUTE_PGM_RSRC2:TGID_X_EN: 1
; COMPUTE_PGM_RSRC2:TGID_Y_EN: 0
; COMPUTE_PGM_RSRC2:TGID_Z_EN: 1
; COMPUTE_PGM_RSRC2:TIDIG_COMP_CNT: 0
	.section	.text._ZL19rocblas_scal_kernelIlLi256E19rocblas_complex_numIfES1_PKfPS1_EviT3_lT4_lT_li,"axG",@progbits,_ZL19rocblas_scal_kernelIlLi256E19rocblas_complex_numIfES1_PKfPS1_EviT3_lT4_lT_li,comdat
	.globl	_ZL19rocblas_scal_kernelIlLi256E19rocblas_complex_numIfES1_PKfPS1_EviT3_lT4_lT_li ; -- Begin function _ZL19rocblas_scal_kernelIlLi256E19rocblas_complex_numIfES1_PKfPS1_EviT3_lT4_lT_li
	.p2align	8
	.type	_ZL19rocblas_scal_kernelIlLi256E19rocblas_complex_numIfES1_PKfPS1_EviT3_lT4_lT_li,@function
_ZL19rocblas_scal_kernelIlLi256E19rocblas_complex_numIfES1_PKfPS1_EviT3_lT4_lT_li: ; @_ZL19rocblas_scal_kernelIlLi256E19rocblas_complex_numIfES1_PKfPS1_EviT3_lT4_lT_li
; %bb.0:
	s_load_dwordx8 s[8:15], s[4:5], 0x8
	v_lshl_or_b32 v0, s6, 8, v0
	s_waitcnt lgkmcnt(0)
	s_mul_i32 s0, s11, s7
	s_mul_hi_u32 s1, s10, s7
	s_add_i32 s1, s1, s0
	s_mul_i32 s0, s10, s7
	s_lshl_b64 s[0:1], s[0:1], 2
	s_add_u32 s2, s8, s0
	s_addc_u32 s3, s9, s1
	s_load_dword s0, s[2:3], 0x0
	s_load_dword s1, s[4:5], 0x0
	s_waitcnt lgkmcnt(0)
	v_cmp_neq_f32_e64 s[2:3], s0, 1.0
	v_cmp_gt_u32_e32 vcc, s1, v0
	s_and_b64 s[2:3], vcc, s[2:3]
	s_and_saveexec_b64 s[8:9], s[2:3]
	s_cbranch_execz .LBB30_2
; %bb.1:
	s_load_dwordx4 s[8:11], s[4:5], 0x28
	s_waitcnt lgkmcnt(0)
	s_mul_i32 s1, s11, s7
	s_mul_hi_u32 s3, s10, s7
	v_mad_u64_u32 v[1:2], s[4:5], s8, v0, 0
	s_mul_i32 s2, s10, s7
	s_add_i32 s3, s3, s1
	s_lshl_b64 s[2:3], s[2:3], 3
	s_add_u32 s1, s12, s2
	s_addc_u32 s4, s13, s3
	v_mad_u64_u32 v[2:3], s[2:3], s9, v0, v[2:3]
	s_lshl_b64 s[2:3], s[14:15], 3
	s_add_u32 s1, s1, s2
	v_lshlrev_b64 v[0:1], 3, v[1:2]
	s_addc_u32 s2, s4, s3
	v_mov_b32_e32 v2, s2
	v_add_co_u32_e32 v0, vcc, s1, v0
	v_addc_co_u32_e32 v1, vcc, v2, v1, vcc
	global_load_dwordx2 v[2:3], v[0:1], off
	s_waitcnt vmcnt(0)
	v_mul_f32_e32 v5, 0, v3
	v_mul_f32_e32 v4, s0, v3
	v_fma_f32 v3, s0, v2, -v5
	v_fmac_f32_e32 v4, 0, v2
	global_store_dwordx2 v[0:1], v[3:4], off
.LBB30_2:
	s_endpgm
	.section	.rodata,"a",@progbits
	.p2align	6, 0x0
	.amdhsa_kernel _ZL19rocblas_scal_kernelIlLi256E19rocblas_complex_numIfES1_PKfPS1_EviT3_lT4_lT_li
		.amdhsa_group_segment_fixed_size 0
		.amdhsa_private_segment_fixed_size 0
		.amdhsa_kernarg_size 60
		.amdhsa_user_sgpr_count 6
		.amdhsa_user_sgpr_private_segment_buffer 1
		.amdhsa_user_sgpr_dispatch_ptr 0
		.amdhsa_user_sgpr_queue_ptr 0
		.amdhsa_user_sgpr_kernarg_segment_ptr 1
		.amdhsa_user_sgpr_dispatch_id 0
		.amdhsa_user_sgpr_flat_scratch_init 0
		.amdhsa_user_sgpr_private_segment_size 0
		.amdhsa_uses_dynamic_stack 0
		.amdhsa_system_sgpr_private_segment_wavefront_offset 0
		.amdhsa_system_sgpr_workgroup_id_x 1
		.amdhsa_system_sgpr_workgroup_id_y 0
		.amdhsa_system_sgpr_workgroup_id_z 1
		.amdhsa_system_sgpr_workgroup_info 0
		.amdhsa_system_vgpr_workitem_id 0
		.amdhsa_next_free_vgpr 6
		.amdhsa_next_free_sgpr 16
		.amdhsa_reserve_vcc 1
		.amdhsa_reserve_flat_scratch 0
		.amdhsa_float_round_mode_32 0
		.amdhsa_float_round_mode_16_64 0
		.amdhsa_float_denorm_mode_32 3
		.amdhsa_float_denorm_mode_16_64 3
		.amdhsa_dx10_clamp 1
		.amdhsa_ieee_mode 1
		.amdhsa_fp16_overflow 0
		.amdhsa_exception_fp_ieee_invalid_op 0
		.amdhsa_exception_fp_denorm_src 0
		.amdhsa_exception_fp_ieee_div_zero 0
		.amdhsa_exception_fp_ieee_overflow 0
		.amdhsa_exception_fp_ieee_underflow 0
		.amdhsa_exception_fp_ieee_inexact 0
		.amdhsa_exception_int_div_zero 0
	.end_amdhsa_kernel
	.section	.text._ZL19rocblas_scal_kernelIlLi256E19rocblas_complex_numIfES1_PKfPS1_EviT3_lT4_lT_li,"axG",@progbits,_ZL19rocblas_scal_kernelIlLi256E19rocblas_complex_numIfES1_PKfPS1_EviT3_lT4_lT_li,comdat
.Lfunc_end30:
	.size	_ZL19rocblas_scal_kernelIlLi256E19rocblas_complex_numIfES1_PKfPS1_EviT3_lT4_lT_li, .Lfunc_end30-_ZL19rocblas_scal_kernelIlLi256E19rocblas_complex_numIfES1_PKfPS1_EviT3_lT4_lT_li
                                        ; -- End function
	.set _ZL19rocblas_scal_kernelIlLi256E19rocblas_complex_numIfES1_PKfPS1_EviT3_lT4_lT_li.num_vgpr, 6
	.set _ZL19rocblas_scal_kernelIlLi256E19rocblas_complex_numIfES1_PKfPS1_EviT3_lT4_lT_li.num_agpr, 0
	.set _ZL19rocblas_scal_kernelIlLi256E19rocblas_complex_numIfES1_PKfPS1_EviT3_lT4_lT_li.numbered_sgpr, 16
	.set _ZL19rocblas_scal_kernelIlLi256E19rocblas_complex_numIfES1_PKfPS1_EviT3_lT4_lT_li.num_named_barrier, 0
	.set _ZL19rocblas_scal_kernelIlLi256E19rocblas_complex_numIfES1_PKfPS1_EviT3_lT4_lT_li.private_seg_size, 0
	.set _ZL19rocblas_scal_kernelIlLi256E19rocblas_complex_numIfES1_PKfPS1_EviT3_lT4_lT_li.uses_vcc, 1
	.set _ZL19rocblas_scal_kernelIlLi256E19rocblas_complex_numIfES1_PKfPS1_EviT3_lT4_lT_li.uses_flat_scratch, 0
	.set _ZL19rocblas_scal_kernelIlLi256E19rocblas_complex_numIfES1_PKfPS1_EviT3_lT4_lT_li.has_dyn_sized_stack, 0
	.set _ZL19rocblas_scal_kernelIlLi256E19rocblas_complex_numIfES1_PKfPS1_EviT3_lT4_lT_li.has_recursion, 0
	.set _ZL19rocblas_scal_kernelIlLi256E19rocblas_complex_numIfES1_PKfPS1_EviT3_lT4_lT_li.has_indirect_call, 0
	.section	.AMDGPU.csdata,"",@progbits
; Kernel info:
; codeLenInByte = 224
; TotalNumSgprs: 20
; NumVgprs: 6
; ScratchSize: 0
; MemoryBound: 0
; FloatMode: 240
; IeeeMode: 1
; LDSByteSize: 0 bytes/workgroup (compile time only)
; SGPRBlocks: 2
; VGPRBlocks: 1
; NumSGPRsForWavesPerEU: 20
; NumVGPRsForWavesPerEU: 6
; Occupancy: 10
; WaveLimiterHint : 0
; COMPUTE_PGM_RSRC2:SCRATCH_EN: 0
; COMPUTE_PGM_RSRC2:USER_SGPR: 6
; COMPUTE_PGM_RSRC2:TRAP_HANDLER: 0
; COMPUTE_PGM_RSRC2:TGID_X_EN: 1
; COMPUTE_PGM_RSRC2:TGID_Y_EN: 0
; COMPUTE_PGM_RSRC2:TGID_Z_EN: 1
; COMPUTE_PGM_RSRC2:TIDIG_COMP_CNT: 0
	.section	.text._ZL19rocblas_scal_kernelIlLi256E19rocblas_complex_numIfES1_fPS1_EviT3_lT4_lT_li,"axG",@progbits,_ZL19rocblas_scal_kernelIlLi256E19rocblas_complex_numIfES1_fPS1_EviT3_lT4_lT_li,comdat
	.globl	_ZL19rocblas_scal_kernelIlLi256E19rocblas_complex_numIfES1_fPS1_EviT3_lT4_lT_li ; -- Begin function _ZL19rocblas_scal_kernelIlLi256E19rocblas_complex_numIfES1_fPS1_EviT3_lT4_lT_li
	.p2align	8
	.type	_ZL19rocblas_scal_kernelIlLi256E19rocblas_complex_numIfES1_fPS1_EviT3_lT4_lT_li,@function
_ZL19rocblas_scal_kernelIlLi256E19rocblas_complex_numIfES1_fPS1_EviT3_lT4_lT_li: ; @_ZL19rocblas_scal_kernelIlLi256E19rocblas_complex_numIfES1_fPS1_EviT3_lT4_lT_li
; %bb.0:
	s_load_dwordx2 s[0:1], s[4:5], 0x0
	v_lshl_or_b32 v0, s6, 8, v0
	s_waitcnt lgkmcnt(0)
	v_cmp_neq_f32_e64 s[2:3], s1, 1.0
	v_cmp_gt_u32_e32 vcc, s0, v0
	s_and_b64 s[2:3], vcc, s[2:3]
	s_and_saveexec_b64 s[8:9], s[2:3]
	s_cbranch_execz .LBB31_2
; %bb.1:
	s_load_dwordx8 s[8:15], s[4:5], 0x10
	s_waitcnt lgkmcnt(0)
	s_mul_i32 s0, s15, s7
	s_mul_hi_u32 s3, s14, s7
	v_mad_u64_u32 v[1:2], s[4:5], s12, v0, 0
	s_mul_i32 s2, s14, s7
	s_add_i32 s3, s3, s0
	s_lshl_b64 s[2:3], s[2:3], 3
	s_add_u32 s0, s8, s2
	s_addc_u32 s4, s9, s3
	v_mad_u64_u32 v[2:3], s[2:3], s13, v0, v[2:3]
	s_lshl_b64 s[2:3], s[10:11], 3
	s_add_u32 s0, s0, s2
	v_lshlrev_b64 v[0:1], 3, v[1:2]
	s_addc_u32 s2, s4, s3
	v_mov_b32_e32 v2, s2
	v_add_co_u32_e32 v0, vcc, s0, v0
	v_addc_co_u32_e32 v1, vcc, v2, v1, vcc
	global_load_dwordx2 v[2:3], v[0:1], off
	s_waitcnt vmcnt(0)
	v_mul_f32_e32 v5, 0, v3
	v_mul_f32_e32 v4, s1, v3
	v_fma_f32 v3, s1, v2, -v5
	v_fmac_f32_e32 v4, 0, v2
	global_store_dwordx2 v[0:1], v[3:4], off
.LBB31_2:
	s_endpgm
	.section	.rodata,"a",@progbits
	.p2align	6, 0x0
	.amdhsa_kernel _ZL19rocblas_scal_kernelIlLi256E19rocblas_complex_numIfES1_fPS1_EviT3_lT4_lT_li
		.amdhsa_group_segment_fixed_size 0
		.amdhsa_private_segment_fixed_size 0
		.amdhsa_kernarg_size 52
		.amdhsa_user_sgpr_count 6
		.amdhsa_user_sgpr_private_segment_buffer 1
		.amdhsa_user_sgpr_dispatch_ptr 0
		.amdhsa_user_sgpr_queue_ptr 0
		.amdhsa_user_sgpr_kernarg_segment_ptr 1
		.amdhsa_user_sgpr_dispatch_id 0
		.amdhsa_user_sgpr_flat_scratch_init 0
		.amdhsa_user_sgpr_private_segment_size 0
		.amdhsa_uses_dynamic_stack 0
		.amdhsa_system_sgpr_private_segment_wavefront_offset 0
		.amdhsa_system_sgpr_workgroup_id_x 1
		.amdhsa_system_sgpr_workgroup_id_y 0
		.amdhsa_system_sgpr_workgroup_id_z 1
		.amdhsa_system_sgpr_workgroup_info 0
		.amdhsa_system_vgpr_workitem_id 0
		.amdhsa_next_free_vgpr 6
		.amdhsa_next_free_sgpr 16
		.amdhsa_reserve_vcc 1
		.amdhsa_reserve_flat_scratch 0
		.amdhsa_float_round_mode_32 0
		.amdhsa_float_round_mode_16_64 0
		.amdhsa_float_denorm_mode_32 3
		.amdhsa_float_denorm_mode_16_64 3
		.amdhsa_dx10_clamp 1
		.amdhsa_ieee_mode 1
		.amdhsa_fp16_overflow 0
		.amdhsa_exception_fp_ieee_invalid_op 0
		.amdhsa_exception_fp_denorm_src 0
		.amdhsa_exception_fp_ieee_div_zero 0
		.amdhsa_exception_fp_ieee_overflow 0
		.amdhsa_exception_fp_ieee_underflow 0
		.amdhsa_exception_fp_ieee_inexact 0
		.amdhsa_exception_int_div_zero 0
	.end_amdhsa_kernel
	.section	.text._ZL19rocblas_scal_kernelIlLi256E19rocblas_complex_numIfES1_fPS1_EviT3_lT4_lT_li,"axG",@progbits,_ZL19rocblas_scal_kernelIlLi256E19rocblas_complex_numIfES1_fPS1_EviT3_lT4_lT_li,comdat
.Lfunc_end31:
	.size	_ZL19rocblas_scal_kernelIlLi256E19rocblas_complex_numIfES1_fPS1_EviT3_lT4_lT_li, .Lfunc_end31-_ZL19rocblas_scal_kernelIlLi256E19rocblas_complex_numIfES1_fPS1_EviT3_lT4_lT_li
                                        ; -- End function
	.set _ZL19rocblas_scal_kernelIlLi256E19rocblas_complex_numIfES1_fPS1_EviT3_lT4_lT_li.num_vgpr, 6
	.set _ZL19rocblas_scal_kernelIlLi256E19rocblas_complex_numIfES1_fPS1_EviT3_lT4_lT_li.num_agpr, 0
	.set _ZL19rocblas_scal_kernelIlLi256E19rocblas_complex_numIfES1_fPS1_EviT3_lT4_lT_li.numbered_sgpr, 16
	.set _ZL19rocblas_scal_kernelIlLi256E19rocblas_complex_numIfES1_fPS1_EviT3_lT4_lT_li.num_named_barrier, 0
	.set _ZL19rocblas_scal_kernelIlLi256E19rocblas_complex_numIfES1_fPS1_EviT3_lT4_lT_li.private_seg_size, 0
	.set _ZL19rocblas_scal_kernelIlLi256E19rocblas_complex_numIfES1_fPS1_EviT3_lT4_lT_li.uses_vcc, 1
	.set _ZL19rocblas_scal_kernelIlLi256E19rocblas_complex_numIfES1_fPS1_EviT3_lT4_lT_li.uses_flat_scratch, 0
	.set _ZL19rocblas_scal_kernelIlLi256E19rocblas_complex_numIfES1_fPS1_EviT3_lT4_lT_li.has_dyn_sized_stack, 0
	.set _ZL19rocblas_scal_kernelIlLi256E19rocblas_complex_numIfES1_fPS1_EviT3_lT4_lT_li.has_recursion, 0
	.set _ZL19rocblas_scal_kernelIlLi256E19rocblas_complex_numIfES1_fPS1_EviT3_lT4_lT_li.has_indirect_call, 0
	.section	.AMDGPU.csdata,"",@progbits
; Kernel info:
; codeLenInByte = 176
; TotalNumSgprs: 20
; NumVgprs: 6
; ScratchSize: 0
; MemoryBound: 0
; FloatMode: 240
; IeeeMode: 1
; LDSByteSize: 0 bytes/workgroup (compile time only)
; SGPRBlocks: 2
; VGPRBlocks: 1
; NumSGPRsForWavesPerEU: 20
; NumVGPRsForWavesPerEU: 6
; Occupancy: 10
; WaveLimiterHint : 0
; COMPUTE_PGM_RSRC2:SCRATCH_EN: 0
; COMPUTE_PGM_RSRC2:USER_SGPR: 6
; COMPUTE_PGM_RSRC2:TRAP_HANDLER: 0
; COMPUTE_PGM_RSRC2:TGID_X_EN: 1
; COMPUTE_PGM_RSRC2:TGID_Y_EN: 0
; COMPUTE_PGM_RSRC2:TGID_Z_EN: 1
; COMPUTE_PGM_RSRC2:TIDIG_COMP_CNT: 0
	.section	.text._ZL22rocblas_sscal_2_kernelILi256E19rocblas_complex_numIdES1_PKdPS1_EviT2_lT3_lli,"axG",@progbits,_ZL22rocblas_sscal_2_kernelILi256E19rocblas_complex_numIdES1_PKdPS1_EviT2_lT3_lli,comdat
	.globl	_ZL22rocblas_sscal_2_kernelILi256E19rocblas_complex_numIdES1_PKdPS1_EviT2_lT3_lli ; -- Begin function _ZL22rocblas_sscal_2_kernelILi256E19rocblas_complex_numIdES1_PKdPS1_EviT2_lT3_lli
	.p2align	8
	.type	_ZL22rocblas_sscal_2_kernelILi256E19rocblas_complex_numIdES1_PKdPS1_EviT2_lT3_lli,@function
_ZL22rocblas_sscal_2_kernelILi256E19rocblas_complex_numIdES1_PKdPS1_EviT2_lT3_lli: ; @_ZL22rocblas_sscal_2_kernelILi256E19rocblas_complex_numIdES1_PKdPS1_EviT2_lT3_lli
; %bb.0:
	s_load_dwordx4 s[0:3], s[4:5], 0x8
	s_waitcnt lgkmcnt(0)
	s_mul_i32 s3, s3, s7
	s_mul_hi_u32 s8, s2, s7
	s_add_i32 s3, s8, s3
	s_mul_i32 s2, s2, s7
	s_lshl_b64 s[2:3], s[2:3], 3
	s_add_u32 s0, s0, s2
	s_addc_u32 s1, s1, s3
	s_load_dwordx2 s[0:1], s[0:1], 0x0
	s_waitcnt lgkmcnt(0)
	v_cmp_eq_f64_e64 s[2:3], s[0:1], 1.0
	s_and_b64 vcc, exec, s[2:3]
	s_cbranch_vccnz .LBB32_5
; %bb.1:
	s_load_dwordx4 s[12:15], s[4:5], 0x20
	s_load_dwordx2 s[2:3], s[4:5], 0x18
	s_load_dword s8, s[4:5], 0x0
	v_lshlrev_b32_e32 v0, 1, v0
	v_lshl_or_b32 v0, s6, 9, v0
	s_waitcnt lgkmcnt(0)
	s_mul_i32 s4, s15, s7
	s_mul_hi_u32 s5, s14, s7
	s_add_i32 s5, s5, s4
	s_mul_i32 s4, s14, s7
	s_lshl_b64 s[4:5], s[4:5], 4
	s_add_u32 s4, s2, s4
	s_addc_u32 s5, s3, s5
	s_lshl_b64 s[2:3], s[12:13], 4
	s_add_u32 s4, s4, s2
	v_or_b32_e32 v1, 1, v0
	s_addc_u32 s5, s5, s3
	v_cmp_gt_u32_e32 vcc, s8, v1
	s_and_saveexec_b64 s[2:3], vcc
	s_cbranch_execz .LBB32_3
; %bb.2:
	v_mov_b32_e32 v1, 0
	v_lshlrev_b64 v[1:2], 4, v[0:1]
	v_mov_b32_e32 v3, s5
	v_add_co_u32_e32 v13, vcc, s4, v1
	v_addc_co_u32_e32 v14, vcc, v3, v2, vcc
	global_load_dwordx4 v[1:4], v[13:14], off
	global_load_dwordx4 v[5:8], v[13:14], off offset:16
	s_waitcnt vmcnt(1)
	v_mul_f64 v[9:10], v[3:4], 0
	v_mul_f64 v[3:4], s[0:1], v[3:4]
	s_waitcnt vmcnt(0)
	v_mul_f64 v[15:16], v[7:8], 0
	v_fma_f64 v[9:10], s[0:1], v[1:2], -v[9:10]
	v_fma_f64 v[11:12], v[1:2], 0, v[3:4]
	v_mul_f64 v[3:4], s[0:1], v[7:8]
	v_fma_f64 v[1:2], s[0:1], v[5:6], -v[15:16]
	v_fma_f64 v[3:4], v[5:6], 0, v[3:4]
	global_store_dwordx4 v[13:14], v[9:12], off
	global_store_dwordx4 v[13:14], v[1:4], off offset:16
.LBB32_3:
	s_or_b64 exec, exec, s[2:3]
	s_bitcmp1_b32 s8, 0
	s_cselect_b64 s[2:3], -1, 0
	s_add_i32 s8, s8, -1
	v_cmp_eq_u32_e32 vcc, s8, v0
	s_and_b64 s[2:3], s[2:3], vcc
	s_and_saveexec_b64 s[6:7], s[2:3]
	s_cbranch_execz .LBB32_5
; %bb.4:
	v_mov_b32_e32 v1, 0
	v_lshlrev_b64 v[0:1], 4, v[0:1]
	v_mov_b32_e32 v2, s5
	v_add_co_u32_e32 v6, vcc, s4, v0
	v_addc_co_u32_e32 v7, vcc, v2, v1, vcc
	global_load_dwordx4 v[0:3], v[6:7], off
	s_waitcnt vmcnt(0)
	v_mul_f64 v[4:5], v[2:3], 0
	v_mul_f64 v[8:9], s[0:1], v[2:3]
	v_fma_f64 v[2:3], s[0:1], v[0:1], -v[4:5]
	v_fma_f64 v[4:5], v[0:1], 0, v[8:9]
	global_store_dwordx4 v[6:7], v[2:5], off
.LBB32_5:
	s_endpgm
	.section	.rodata,"a",@progbits
	.p2align	6, 0x0
	.amdhsa_kernel _ZL22rocblas_sscal_2_kernelILi256E19rocblas_complex_numIdES1_PKdPS1_EviT2_lT3_lli
		.amdhsa_group_segment_fixed_size 0
		.amdhsa_private_segment_fixed_size 0
		.amdhsa_kernarg_size 52
		.amdhsa_user_sgpr_count 6
		.amdhsa_user_sgpr_private_segment_buffer 1
		.amdhsa_user_sgpr_dispatch_ptr 0
		.amdhsa_user_sgpr_queue_ptr 0
		.amdhsa_user_sgpr_kernarg_segment_ptr 1
		.amdhsa_user_sgpr_dispatch_id 0
		.amdhsa_user_sgpr_flat_scratch_init 0
		.amdhsa_user_sgpr_private_segment_size 0
		.amdhsa_uses_dynamic_stack 0
		.amdhsa_system_sgpr_private_segment_wavefront_offset 0
		.amdhsa_system_sgpr_workgroup_id_x 1
		.amdhsa_system_sgpr_workgroup_id_y 0
		.amdhsa_system_sgpr_workgroup_id_z 1
		.amdhsa_system_sgpr_workgroup_info 0
		.amdhsa_system_vgpr_workitem_id 0
		.amdhsa_next_free_vgpr 17
		.amdhsa_next_free_sgpr 16
		.amdhsa_reserve_vcc 1
		.amdhsa_reserve_flat_scratch 0
		.amdhsa_float_round_mode_32 0
		.amdhsa_float_round_mode_16_64 0
		.amdhsa_float_denorm_mode_32 3
		.amdhsa_float_denorm_mode_16_64 3
		.amdhsa_dx10_clamp 1
		.amdhsa_ieee_mode 1
		.amdhsa_fp16_overflow 0
		.amdhsa_exception_fp_ieee_invalid_op 0
		.amdhsa_exception_fp_denorm_src 0
		.amdhsa_exception_fp_ieee_div_zero 0
		.amdhsa_exception_fp_ieee_overflow 0
		.amdhsa_exception_fp_ieee_underflow 0
		.amdhsa_exception_fp_ieee_inexact 0
		.amdhsa_exception_int_div_zero 0
	.end_amdhsa_kernel
	.section	.text._ZL22rocblas_sscal_2_kernelILi256E19rocblas_complex_numIdES1_PKdPS1_EviT2_lT3_lli,"axG",@progbits,_ZL22rocblas_sscal_2_kernelILi256E19rocblas_complex_numIdES1_PKdPS1_EviT2_lT3_lli,comdat
.Lfunc_end32:
	.size	_ZL22rocblas_sscal_2_kernelILi256E19rocblas_complex_numIdES1_PKdPS1_EviT2_lT3_lli, .Lfunc_end32-_ZL22rocblas_sscal_2_kernelILi256E19rocblas_complex_numIdES1_PKdPS1_EviT2_lT3_lli
                                        ; -- End function
	.set _ZL22rocblas_sscal_2_kernelILi256E19rocblas_complex_numIdES1_PKdPS1_EviT2_lT3_lli.num_vgpr, 17
	.set _ZL22rocblas_sscal_2_kernelILi256E19rocblas_complex_numIdES1_PKdPS1_EviT2_lT3_lli.num_agpr, 0
	.set _ZL22rocblas_sscal_2_kernelILi256E19rocblas_complex_numIdES1_PKdPS1_EviT2_lT3_lli.numbered_sgpr, 16
	.set _ZL22rocblas_sscal_2_kernelILi256E19rocblas_complex_numIdES1_PKdPS1_EviT2_lT3_lli.num_named_barrier, 0
	.set _ZL22rocblas_sscal_2_kernelILi256E19rocblas_complex_numIdES1_PKdPS1_EviT2_lT3_lli.private_seg_size, 0
	.set _ZL22rocblas_sscal_2_kernelILi256E19rocblas_complex_numIdES1_PKdPS1_EviT2_lT3_lli.uses_vcc, 1
	.set _ZL22rocblas_sscal_2_kernelILi256E19rocblas_complex_numIdES1_PKdPS1_EviT2_lT3_lli.uses_flat_scratch, 0
	.set _ZL22rocblas_sscal_2_kernelILi256E19rocblas_complex_numIdES1_PKdPS1_EviT2_lT3_lli.has_dyn_sized_stack, 0
	.set _ZL22rocblas_sscal_2_kernelILi256E19rocblas_complex_numIdES1_PKdPS1_EviT2_lT3_lli.has_recursion, 0
	.set _ZL22rocblas_sscal_2_kernelILi256E19rocblas_complex_numIdES1_PKdPS1_EviT2_lT3_lli.has_indirect_call, 0
	.section	.AMDGPU.csdata,"",@progbits
; Kernel info:
; codeLenInByte = 404
; TotalNumSgprs: 20
; NumVgprs: 17
; ScratchSize: 0
; MemoryBound: 0
; FloatMode: 240
; IeeeMode: 1
; LDSByteSize: 0 bytes/workgroup (compile time only)
; SGPRBlocks: 2
; VGPRBlocks: 4
; NumSGPRsForWavesPerEU: 20
; NumVGPRsForWavesPerEU: 17
; Occupancy: 10
; WaveLimiterHint : 0
; COMPUTE_PGM_RSRC2:SCRATCH_EN: 0
; COMPUTE_PGM_RSRC2:USER_SGPR: 6
; COMPUTE_PGM_RSRC2:TRAP_HANDLER: 0
; COMPUTE_PGM_RSRC2:TGID_X_EN: 1
; COMPUTE_PGM_RSRC2:TGID_Y_EN: 0
; COMPUTE_PGM_RSRC2:TGID_Z_EN: 1
; COMPUTE_PGM_RSRC2:TIDIG_COMP_CNT: 0
	.section	.text._ZL22rocblas_sscal_2_kernelILi256E19rocblas_complex_numIdES1_dPS1_EviT2_lT3_lli,"axG",@progbits,_ZL22rocblas_sscal_2_kernelILi256E19rocblas_complex_numIdES1_dPS1_EviT2_lT3_lli,comdat
	.globl	_ZL22rocblas_sscal_2_kernelILi256E19rocblas_complex_numIdES1_dPS1_EviT2_lT3_lli ; -- Begin function _ZL22rocblas_sscal_2_kernelILi256E19rocblas_complex_numIdES1_dPS1_EviT2_lT3_lli
	.p2align	8
	.type	_ZL22rocblas_sscal_2_kernelILi256E19rocblas_complex_numIdES1_dPS1_EviT2_lT3_lli,@function
_ZL22rocblas_sscal_2_kernelILi256E19rocblas_complex_numIdES1_dPS1_EviT2_lT3_lli: ; @_ZL22rocblas_sscal_2_kernelILi256E19rocblas_complex_numIdES1_dPS1_EviT2_lT3_lli
; %bb.0:
	s_load_dwordx2 s[0:1], s[4:5], 0x8
	s_waitcnt lgkmcnt(0)
	v_cmp_eq_f64_e64 s[2:3], s[0:1], 1.0
	s_and_b64 vcc, exec, s[2:3]
	s_cbranch_vccnz .LBB33_5
; %bb.1:
	s_load_dwordx4 s[12:15], s[4:5], 0x20
	s_load_dwordx2 s[2:3], s[4:5], 0x18
	s_load_dword s8, s[4:5], 0x0
	v_lshlrev_b32_e32 v0, 1, v0
	v_lshl_or_b32 v0, s6, 9, v0
	s_waitcnt lgkmcnt(0)
	s_mul_i32 s4, s15, s7
	s_mul_hi_u32 s5, s14, s7
	s_add_i32 s5, s5, s4
	s_mul_i32 s4, s14, s7
	s_lshl_b64 s[4:5], s[4:5], 4
	s_add_u32 s4, s2, s4
	s_addc_u32 s5, s3, s5
	s_lshl_b64 s[2:3], s[12:13], 4
	s_add_u32 s4, s4, s2
	v_or_b32_e32 v1, 1, v0
	s_addc_u32 s5, s5, s3
	v_cmp_gt_u32_e32 vcc, s8, v1
	s_and_saveexec_b64 s[2:3], vcc
	s_cbranch_execz .LBB33_3
; %bb.2:
	v_mov_b32_e32 v1, 0
	v_lshlrev_b64 v[1:2], 4, v[0:1]
	v_mov_b32_e32 v3, s5
	v_add_co_u32_e32 v13, vcc, s4, v1
	v_addc_co_u32_e32 v14, vcc, v3, v2, vcc
	global_load_dwordx4 v[1:4], v[13:14], off
	global_load_dwordx4 v[5:8], v[13:14], off offset:16
	s_waitcnt vmcnt(1)
	v_mul_f64 v[9:10], v[3:4], 0
	v_mul_f64 v[3:4], s[0:1], v[3:4]
	s_waitcnt vmcnt(0)
	v_mul_f64 v[15:16], v[7:8], 0
	v_fma_f64 v[9:10], s[0:1], v[1:2], -v[9:10]
	v_fma_f64 v[11:12], v[1:2], 0, v[3:4]
	v_mul_f64 v[3:4], s[0:1], v[7:8]
	v_fma_f64 v[1:2], s[0:1], v[5:6], -v[15:16]
	v_fma_f64 v[3:4], v[5:6], 0, v[3:4]
	global_store_dwordx4 v[13:14], v[9:12], off
	global_store_dwordx4 v[13:14], v[1:4], off offset:16
.LBB33_3:
	s_or_b64 exec, exec, s[2:3]
	s_bitcmp1_b32 s8, 0
	s_cselect_b64 s[2:3], -1, 0
	s_add_i32 s8, s8, -1
	v_cmp_eq_u32_e32 vcc, s8, v0
	s_and_b64 s[2:3], s[2:3], vcc
	s_and_saveexec_b64 s[6:7], s[2:3]
	s_cbranch_execz .LBB33_5
; %bb.4:
	v_mov_b32_e32 v1, 0
	v_lshlrev_b64 v[0:1], 4, v[0:1]
	v_mov_b32_e32 v2, s5
	v_add_co_u32_e32 v6, vcc, s4, v0
	v_addc_co_u32_e32 v7, vcc, v2, v1, vcc
	global_load_dwordx4 v[0:3], v[6:7], off
	s_waitcnt vmcnt(0)
	v_mul_f64 v[4:5], v[2:3], 0
	v_mul_f64 v[8:9], s[0:1], v[2:3]
	v_fma_f64 v[2:3], s[0:1], v[0:1], -v[4:5]
	v_fma_f64 v[4:5], v[0:1], 0, v[8:9]
	global_store_dwordx4 v[6:7], v[2:5], off
.LBB33_5:
	s_endpgm
	.section	.rodata,"a",@progbits
	.p2align	6, 0x0
	.amdhsa_kernel _ZL22rocblas_sscal_2_kernelILi256E19rocblas_complex_numIdES1_dPS1_EviT2_lT3_lli
		.amdhsa_group_segment_fixed_size 0
		.amdhsa_private_segment_fixed_size 0
		.amdhsa_kernarg_size 52
		.amdhsa_user_sgpr_count 6
		.amdhsa_user_sgpr_private_segment_buffer 1
		.amdhsa_user_sgpr_dispatch_ptr 0
		.amdhsa_user_sgpr_queue_ptr 0
		.amdhsa_user_sgpr_kernarg_segment_ptr 1
		.amdhsa_user_sgpr_dispatch_id 0
		.amdhsa_user_sgpr_flat_scratch_init 0
		.amdhsa_user_sgpr_private_segment_size 0
		.amdhsa_uses_dynamic_stack 0
		.amdhsa_system_sgpr_private_segment_wavefront_offset 0
		.amdhsa_system_sgpr_workgroup_id_x 1
		.amdhsa_system_sgpr_workgroup_id_y 0
		.amdhsa_system_sgpr_workgroup_id_z 1
		.amdhsa_system_sgpr_workgroup_info 0
		.amdhsa_system_vgpr_workitem_id 0
		.amdhsa_next_free_vgpr 17
		.amdhsa_next_free_sgpr 16
		.amdhsa_reserve_vcc 1
		.amdhsa_reserve_flat_scratch 0
		.amdhsa_float_round_mode_32 0
		.amdhsa_float_round_mode_16_64 0
		.amdhsa_float_denorm_mode_32 3
		.amdhsa_float_denorm_mode_16_64 3
		.amdhsa_dx10_clamp 1
		.amdhsa_ieee_mode 1
		.amdhsa_fp16_overflow 0
		.amdhsa_exception_fp_ieee_invalid_op 0
		.amdhsa_exception_fp_denorm_src 0
		.amdhsa_exception_fp_ieee_div_zero 0
		.amdhsa_exception_fp_ieee_overflow 0
		.amdhsa_exception_fp_ieee_underflow 0
		.amdhsa_exception_fp_ieee_inexact 0
		.amdhsa_exception_int_div_zero 0
	.end_amdhsa_kernel
	.section	.text._ZL22rocblas_sscal_2_kernelILi256E19rocblas_complex_numIdES1_dPS1_EviT2_lT3_lli,"axG",@progbits,_ZL22rocblas_sscal_2_kernelILi256E19rocblas_complex_numIdES1_dPS1_EviT2_lT3_lli,comdat
.Lfunc_end33:
	.size	_ZL22rocblas_sscal_2_kernelILi256E19rocblas_complex_numIdES1_dPS1_EviT2_lT3_lli, .Lfunc_end33-_ZL22rocblas_sscal_2_kernelILi256E19rocblas_complex_numIdES1_dPS1_EviT2_lT3_lli
                                        ; -- End function
	.set _ZL22rocblas_sscal_2_kernelILi256E19rocblas_complex_numIdES1_dPS1_EviT2_lT3_lli.num_vgpr, 17
	.set _ZL22rocblas_sscal_2_kernelILi256E19rocblas_complex_numIdES1_dPS1_EviT2_lT3_lli.num_agpr, 0
	.set _ZL22rocblas_sscal_2_kernelILi256E19rocblas_complex_numIdES1_dPS1_EviT2_lT3_lli.numbered_sgpr, 16
	.set _ZL22rocblas_sscal_2_kernelILi256E19rocblas_complex_numIdES1_dPS1_EviT2_lT3_lli.num_named_barrier, 0
	.set _ZL22rocblas_sscal_2_kernelILi256E19rocblas_complex_numIdES1_dPS1_EviT2_lT3_lli.private_seg_size, 0
	.set _ZL22rocblas_sscal_2_kernelILi256E19rocblas_complex_numIdES1_dPS1_EviT2_lT3_lli.uses_vcc, 1
	.set _ZL22rocblas_sscal_2_kernelILi256E19rocblas_complex_numIdES1_dPS1_EviT2_lT3_lli.uses_flat_scratch, 0
	.set _ZL22rocblas_sscal_2_kernelILi256E19rocblas_complex_numIdES1_dPS1_EviT2_lT3_lli.has_dyn_sized_stack, 0
	.set _ZL22rocblas_sscal_2_kernelILi256E19rocblas_complex_numIdES1_dPS1_EviT2_lT3_lli.has_recursion, 0
	.set _ZL22rocblas_sscal_2_kernelILi256E19rocblas_complex_numIdES1_dPS1_EviT2_lT3_lli.has_indirect_call, 0
	.section	.AMDGPU.csdata,"",@progbits
; Kernel info:
; codeLenInByte = 364
; TotalNumSgprs: 20
; NumVgprs: 17
; ScratchSize: 0
; MemoryBound: 0
; FloatMode: 240
; IeeeMode: 1
; LDSByteSize: 0 bytes/workgroup (compile time only)
; SGPRBlocks: 2
; VGPRBlocks: 4
; NumSGPRsForWavesPerEU: 20
; NumVGPRsForWavesPerEU: 17
; Occupancy: 10
; WaveLimiterHint : 0
; COMPUTE_PGM_RSRC2:SCRATCH_EN: 0
; COMPUTE_PGM_RSRC2:USER_SGPR: 6
; COMPUTE_PGM_RSRC2:TRAP_HANDLER: 0
; COMPUTE_PGM_RSRC2:TGID_X_EN: 1
; COMPUTE_PGM_RSRC2:TGID_Y_EN: 0
; COMPUTE_PGM_RSRC2:TGID_Z_EN: 1
; COMPUTE_PGM_RSRC2:TIDIG_COMP_CNT: 0
	.section	.text._ZL19rocblas_scal_kernelIiLi256E19rocblas_complex_numIdES1_PKdPS1_EviT3_lT4_lT_li,"axG",@progbits,_ZL19rocblas_scal_kernelIiLi256E19rocblas_complex_numIdES1_PKdPS1_EviT3_lT4_lT_li,comdat
	.globl	_ZL19rocblas_scal_kernelIiLi256E19rocblas_complex_numIdES1_PKdPS1_EviT3_lT4_lT_li ; -- Begin function _ZL19rocblas_scal_kernelIiLi256E19rocblas_complex_numIdES1_PKdPS1_EviT3_lT4_lT_li
	.p2align	8
	.type	_ZL19rocblas_scal_kernelIiLi256E19rocblas_complex_numIdES1_PKdPS1_EviT3_lT4_lT_li,@function
_ZL19rocblas_scal_kernelIiLi256E19rocblas_complex_numIdES1_PKdPS1_EviT3_lT4_lT_li: ; @_ZL19rocblas_scal_kernelIiLi256E19rocblas_complex_numIdES1_PKdPS1_EviT3_lT4_lT_li
; %bb.0:
	s_load_dwordx8 s[8:15], s[4:5], 0x8
	v_lshl_or_b32 v0, s6, 8, v0
	s_waitcnt lgkmcnt(0)
	s_mul_i32 s0, s11, s7
	s_mul_hi_u32 s1, s10, s7
	s_add_i32 s1, s1, s0
	s_mul_i32 s0, s10, s7
	s_lshl_b64 s[0:1], s[0:1], 3
	s_add_u32 s0, s8, s0
	s_addc_u32 s1, s9, s1
	s_load_dwordx2 s[0:1], s[0:1], 0x0
	s_waitcnt lgkmcnt(0)
	v_cmp_neq_f64_e64 s[2:3], s[0:1], 1.0
	s_load_dword s8, s[4:5], 0x0
	s_waitcnt lgkmcnt(0)
	v_cmp_gt_u32_e32 vcc, s8, v0
	s_and_b64 s[2:3], vcc, s[2:3]
	s_and_saveexec_b64 s[8:9], s[2:3]
	s_cbranch_execz .LBB34_2
; %bb.1:
	s_load_dword s6, s[4:5], 0x28
	s_load_dwordx2 s[2:3], s[4:5], 0x30
	s_waitcnt lgkmcnt(0)
	s_ashr_i32 s8, s6, 31
	s_mul_i32 s3, s3, s7
	s_mul_hi_u32 s4, s2, s7
	s_add_i32 s3, s4, s3
	v_mad_u64_u32 v[1:2], s[4:5], s6, v0, 0
	s_mul_i32 s2, s2, s7
	s_lshl_b64 s[2:3], s[2:3], 4
	s_add_u32 s4, s12, s2
	s_addc_u32 s5, s13, s3
	v_mad_u64_u32 v[2:3], s[2:3], s8, v0, v[2:3]
	s_lshl_b64 s[2:3], s[14:15], 4
	s_add_u32 s2, s4, s2
	v_lshlrev_b64 v[0:1], 4, v[1:2]
	s_addc_u32 s3, s5, s3
	v_mov_b32_e32 v2, s3
	v_add_co_u32_e32 v6, vcc, s2, v0
	v_addc_co_u32_e32 v7, vcc, v2, v1, vcc
	global_load_dwordx4 v[0:3], v[6:7], off
	s_waitcnt vmcnt(0)
	v_mul_f64 v[4:5], v[2:3], 0
	v_mul_f64 v[8:9], s[0:1], v[2:3]
	v_fma_f64 v[2:3], s[0:1], v[0:1], -v[4:5]
	v_fma_f64 v[4:5], v[0:1], 0, v[8:9]
	global_store_dwordx4 v[6:7], v[2:5], off
.LBB34_2:
	s_endpgm
	.section	.rodata,"a",@progbits
	.p2align	6, 0x0
	.amdhsa_kernel _ZL19rocblas_scal_kernelIiLi256E19rocblas_complex_numIdES1_PKdPS1_EviT3_lT4_lT_li
		.amdhsa_group_segment_fixed_size 0
		.amdhsa_private_segment_fixed_size 0
		.amdhsa_kernarg_size 60
		.amdhsa_user_sgpr_count 6
		.amdhsa_user_sgpr_private_segment_buffer 1
		.amdhsa_user_sgpr_dispatch_ptr 0
		.amdhsa_user_sgpr_queue_ptr 0
		.amdhsa_user_sgpr_kernarg_segment_ptr 1
		.amdhsa_user_sgpr_dispatch_id 0
		.amdhsa_user_sgpr_flat_scratch_init 0
		.amdhsa_user_sgpr_private_segment_size 0
		.amdhsa_uses_dynamic_stack 0
		.amdhsa_system_sgpr_private_segment_wavefront_offset 0
		.amdhsa_system_sgpr_workgroup_id_x 1
		.amdhsa_system_sgpr_workgroup_id_y 0
		.amdhsa_system_sgpr_workgroup_id_z 1
		.amdhsa_system_sgpr_workgroup_info 0
		.amdhsa_system_vgpr_workitem_id 0
		.amdhsa_next_free_vgpr 10
		.amdhsa_next_free_sgpr 16
		.amdhsa_reserve_vcc 1
		.amdhsa_reserve_flat_scratch 0
		.amdhsa_float_round_mode_32 0
		.amdhsa_float_round_mode_16_64 0
		.amdhsa_float_denorm_mode_32 3
		.amdhsa_float_denorm_mode_16_64 3
		.amdhsa_dx10_clamp 1
		.amdhsa_ieee_mode 1
		.amdhsa_fp16_overflow 0
		.amdhsa_exception_fp_ieee_invalid_op 0
		.amdhsa_exception_fp_denorm_src 0
		.amdhsa_exception_fp_ieee_div_zero 0
		.amdhsa_exception_fp_ieee_overflow 0
		.amdhsa_exception_fp_ieee_underflow 0
		.amdhsa_exception_fp_ieee_inexact 0
		.amdhsa_exception_int_div_zero 0
	.end_amdhsa_kernel
	.section	.text._ZL19rocblas_scal_kernelIiLi256E19rocblas_complex_numIdES1_PKdPS1_EviT3_lT4_lT_li,"axG",@progbits,_ZL19rocblas_scal_kernelIiLi256E19rocblas_complex_numIdES1_PKdPS1_EviT3_lT4_lT_li,comdat
.Lfunc_end34:
	.size	_ZL19rocblas_scal_kernelIiLi256E19rocblas_complex_numIdES1_PKdPS1_EviT3_lT4_lT_li, .Lfunc_end34-_ZL19rocblas_scal_kernelIiLi256E19rocblas_complex_numIdES1_PKdPS1_EviT3_lT4_lT_li
                                        ; -- End function
	.set _ZL19rocblas_scal_kernelIiLi256E19rocblas_complex_numIdES1_PKdPS1_EviT3_lT4_lT_li.num_vgpr, 10
	.set _ZL19rocblas_scal_kernelIiLi256E19rocblas_complex_numIdES1_PKdPS1_EviT3_lT4_lT_li.num_agpr, 0
	.set _ZL19rocblas_scal_kernelIiLi256E19rocblas_complex_numIdES1_PKdPS1_EviT3_lT4_lT_li.numbered_sgpr, 16
	.set _ZL19rocblas_scal_kernelIiLi256E19rocblas_complex_numIdES1_PKdPS1_EviT3_lT4_lT_li.num_named_barrier, 0
	.set _ZL19rocblas_scal_kernelIiLi256E19rocblas_complex_numIdES1_PKdPS1_EviT3_lT4_lT_li.private_seg_size, 0
	.set _ZL19rocblas_scal_kernelIiLi256E19rocblas_complex_numIdES1_PKdPS1_EviT3_lT4_lT_li.uses_vcc, 1
	.set _ZL19rocblas_scal_kernelIiLi256E19rocblas_complex_numIdES1_PKdPS1_EviT3_lT4_lT_li.uses_flat_scratch, 0
	.set _ZL19rocblas_scal_kernelIiLi256E19rocblas_complex_numIdES1_PKdPS1_EviT3_lT4_lT_li.has_dyn_sized_stack, 0
	.set _ZL19rocblas_scal_kernelIiLi256E19rocblas_complex_numIdES1_PKdPS1_EviT3_lT4_lT_li.has_recursion, 0
	.set _ZL19rocblas_scal_kernelIiLi256E19rocblas_complex_numIdES1_PKdPS1_EviT3_lT4_lT_li.has_indirect_call, 0
	.section	.AMDGPU.csdata,"",@progbits
; Kernel info:
; codeLenInByte = 252
; TotalNumSgprs: 20
; NumVgprs: 10
; ScratchSize: 0
; MemoryBound: 0
; FloatMode: 240
; IeeeMode: 1
; LDSByteSize: 0 bytes/workgroup (compile time only)
; SGPRBlocks: 2
; VGPRBlocks: 2
; NumSGPRsForWavesPerEU: 20
; NumVGPRsForWavesPerEU: 10
; Occupancy: 10
; WaveLimiterHint : 0
; COMPUTE_PGM_RSRC2:SCRATCH_EN: 0
; COMPUTE_PGM_RSRC2:USER_SGPR: 6
; COMPUTE_PGM_RSRC2:TRAP_HANDLER: 0
; COMPUTE_PGM_RSRC2:TGID_X_EN: 1
; COMPUTE_PGM_RSRC2:TGID_Y_EN: 0
; COMPUTE_PGM_RSRC2:TGID_Z_EN: 1
; COMPUTE_PGM_RSRC2:TIDIG_COMP_CNT: 0
	.section	.text._ZL19rocblas_scal_kernelIiLi256E19rocblas_complex_numIdES1_dPS1_EviT3_lT4_lT_li,"axG",@progbits,_ZL19rocblas_scal_kernelIiLi256E19rocblas_complex_numIdES1_dPS1_EviT3_lT4_lT_li,comdat
	.globl	_ZL19rocblas_scal_kernelIiLi256E19rocblas_complex_numIdES1_dPS1_EviT3_lT4_lT_li ; -- Begin function _ZL19rocblas_scal_kernelIiLi256E19rocblas_complex_numIdES1_dPS1_EviT3_lT4_lT_li
	.p2align	8
	.type	_ZL19rocblas_scal_kernelIiLi256E19rocblas_complex_numIdES1_dPS1_EviT3_lT4_lT_li,@function
_ZL19rocblas_scal_kernelIiLi256E19rocblas_complex_numIdES1_dPS1_EviT3_lT4_lT_li: ; @_ZL19rocblas_scal_kernelIiLi256E19rocblas_complex_numIdES1_dPS1_EviT3_lT4_lT_li
; %bb.0:
	s_load_dwordx2 s[0:1], s[4:5], 0x8
	s_load_dword s8, s[4:5], 0x0
	v_lshl_or_b32 v0, s6, 8, v0
	s_waitcnt lgkmcnt(0)
	v_cmp_neq_f64_e64 s[2:3], s[0:1], 1.0
	v_cmp_gt_u32_e32 vcc, s8, v0
	s_and_b64 s[2:3], vcc, s[2:3]
	s_and_saveexec_b64 s[8:9], s[2:3]
	s_cbranch_execz .LBB35_2
; %bb.1:
	s_load_dword s6, s[4:5], 0x28
	s_load_dwordx2 s[2:3], s[4:5], 0x30
	s_load_dwordx4 s[8:11], s[4:5], 0x18
	s_waitcnt lgkmcnt(0)
	s_ashr_i32 s12, s6, 31
	s_mul_i32 s3, s3, s7
	s_mul_hi_u32 s4, s2, s7
	s_add_i32 s3, s4, s3
	v_mad_u64_u32 v[1:2], s[4:5], s6, v0, 0
	s_mul_i32 s2, s2, s7
	s_lshl_b64 s[2:3], s[2:3], 4
	s_add_u32 s4, s8, s2
	s_addc_u32 s5, s9, s3
	v_mad_u64_u32 v[2:3], s[2:3], s12, v0, v[2:3]
	s_lshl_b64 s[2:3], s[10:11], 4
	s_add_u32 s2, s4, s2
	v_lshlrev_b64 v[0:1], 4, v[1:2]
	s_addc_u32 s3, s5, s3
	v_mov_b32_e32 v2, s3
	v_add_co_u32_e32 v6, vcc, s2, v0
	v_addc_co_u32_e32 v7, vcc, v2, v1, vcc
	global_load_dwordx4 v[0:3], v[6:7], off
	s_waitcnt vmcnt(0)
	v_mul_f64 v[4:5], v[2:3], 0
	v_mul_f64 v[8:9], s[0:1], v[2:3]
	v_fma_f64 v[2:3], s[0:1], v[0:1], -v[4:5]
	v_fma_f64 v[4:5], v[0:1], 0, v[8:9]
	global_store_dwordx4 v[6:7], v[2:5], off
.LBB35_2:
	s_endpgm
	.section	.rodata,"a",@progbits
	.p2align	6, 0x0
	.amdhsa_kernel _ZL19rocblas_scal_kernelIiLi256E19rocblas_complex_numIdES1_dPS1_EviT3_lT4_lT_li
		.amdhsa_group_segment_fixed_size 0
		.amdhsa_private_segment_fixed_size 0
		.amdhsa_kernarg_size 60
		.amdhsa_user_sgpr_count 6
		.amdhsa_user_sgpr_private_segment_buffer 1
		.amdhsa_user_sgpr_dispatch_ptr 0
		.amdhsa_user_sgpr_queue_ptr 0
		.amdhsa_user_sgpr_kernarg_segment_ptr 1
		.amdhsa_user_sgpr_dispatch_id 0
		.amdhsa_user_sgpr_flat_scratch_init 0
		.amdhsa_user_sgpr_private_segment_size 0
		.amdhsa_uses_dynamic_stack 0
		.amdhsa_system_sgpr_private_segment_wavefront_offset 0
		.amdhsa_system_sgpr_workgroup_id_x 1
		.amdhsa_system_sgpr_workgroup_id_y 0
		.amdhsa_system_sgpr_workgroup_id_z 1
		.amdhsa_system_sgpr_workgroup_info 0
		.amdhsa_system_vgpr_workitem_id 0
		.amdhsa_next_free_vgpr 10
		.amdhsa_next_free_sgpr 13
		.amdhsa_reserve_vcc 1
		.amdhsa_reserve_flat_scratch 0
		.amdhsa_float_round_mode_32 0
		.amdhsa_float_round_mode_16_64 0
		.amdhsa_float_denorm_mode_32 3
		.amdhsa_float_denorm_mode_16_64 3
		.amdhsa_dx10_clamp 1
		.amdhsa_ieee_mode 1
		.amdhsa_fp16_overflow 0
		.amdhsa_exception_fp_ieee_invalid_op 0
		.amdhsa_exception_fp_denorm_src 0
		.amdhsa_exception_fp_ieee_div_zero 0
		.amdhsa_exception_fp_ieee_overflow 0
		.amdhsa_exception_fp_ieee_underflow 0
		.amdhsa_exception_fp_ieee_inexact 0
		.amdhsa_exception_int_div_zero 0
	.end_amdhsa_kernel
	.section	.text._ZL19rocblas_scal_kernelIiLi256E19rocblas_complex_numIdES1_dPS1_EviT3_lT4_lT_li,"axG",@progbits,_ZL19rocblas_scal_kernelIiLi256E19rocblas_complex_numIdES1_dPS1_EviT3_lT4_lT_li,comdat
.Lfunc_end35:
	.size	_ZL19rocblas_scal_kernelIiLi256E19rocblas_complex_numIdES1_dPS1_EviT3_lT4_lT_li, .Lfunc_end35-_ZL19rocblas_scal_kernelIiLi256E19rocblas_complex_numIdES1_dPS1_EviT3_lT4_lT_li
                                        ; -- End function
	.set _ZL19rocblas_scal_kernelIiLi256E19rocblas_complex_numIdES1_dPS1_EviT3_lT4_lT_li.num_vgpr, 10
	.set _ZL19rocblas_scal_kernelIiLi256E19rocblas_complex_numIdES1_dPS1_EviT3_lT4_lT_li.num_agpr, 0
	.set _ZL19rocblas_scal_kernelIiLi256E19rocblas_complex_numIdES1_dPS1_EviT3_lT4_lT_li.numbered_sgpr, 13
	.set _ZL19rocblas_scal_kernelIiLi256E19rocblas_complex_numIdES1_dPS1_EviT3_lT4_lT_li.num_named_barrier, 0
	.set _ZL19rocblas_scal_kernelIiLi256E19rocblas_complex_numIdES1_dPS1_EviT3_lT4_lT_li.private_seg_size, 0
	.set _ZL19rocblas_scal_kernelIiLi256E19rocblas_complex_numIdES1_dPS1_EviT3_lT4_lT_li.uses_vcc, 1
	.set _ZL19rocblas_scal_kernelIiLi256E19rocblas_complex_numIdES1_dPS1_EviT3_lT4_lT_li.uses_flat_scratch, 0
	.set _ZL19rocblas_scal_kernelIiLi256E19rocblas_complex_numIdES1_dPS1_EviT3_lT4_lT_li.has_dyn_sized_stack, 0
	.set _ZL19rocblas_scal_kernelIiLi256E19rocblas_complex_numIdES1_dPS1_EviT3_lT4_lT_li.has_recursion, 0
	.set _ZL19rocblas_scal_kernelIiLi256E19rocblas_complex_numIdES1_dPS1_EviT3_lT4_lT_li.has_indirect_call, 0
	.section	.AMDGPU.csdata,"",@progbits
; Kernel info:
; codeLenInByte = 216
; TotalNumSgprs: 17
; NumVgprs: 10
; ScratchSize: 0
; MemoryBound: 0
; FloatMode: 240
; IeeeMode: 1
; LDSByteSize: 0 bytes/workgroup (compile time only)
; SGPRBlocks: 2
; VGPRBlocks: 2
; NumSGPRsForWavesPerEU: 17
; NumVGPRsForWavesPerEU: 10
; Occupancy: 10
; WaveLimiterHint : 0
; COMPUTE_PGM_RSRC2:SCRATCH_EN: 0
; COMPUTE_PGM_RSRC2:USER_SGPR: 6
; COMPUTE_PGM_RSRC2:TRAP_HANDLER: 0
; COMPUTE_PGM_RSRC2:TGID_X_EN: 1
; COMPUTE_PGM_RSRC2:TGID_Y_EN: 0
; COMPUTE_PGM_RSRC2:TGID_Z_EN: 1
; COMPUTE_PGM_RSRC2:TIDIG_COMP_CNT: 0
	.section	.text._ZL19rocblas_scal_kernelIlLi256E19rocblas_complex_numIdES1_PKdPS1_EviT3_lT4_lT_li,"axG",@progbits,_ZL19rocblas_scal_kernelIlLi256E19rocblas_complex_numIdES1_PKdPS1_EviT3_lT4_lT_li,comdat
	.globl	_ZL19rocblas_scal_kernelIlLi256E19rocblas_complex_numIdES1_PKdPS1_EviT3_lT4_lT_li ; -- Begin function _ZL19rocblas_scal_kernelIlLi256E19rocblas_complex_numIdES1_PKdPS1_EviT3_lT4_lT_li
	.p2align	8
	.type	_ZL19rocblas_scal_kernelIlLi256E19rocblas_complex_numIdES1_PKdPS1_EviT3_lT4_lT_li,@function
_ZL19rocblas_scal_kernelIlLi256E19rocblas_complex_numIdES1_PKdPS1_EviT3_lT4_lT_li: ; @_ZL19rocblas_scal_kernelIlLi256E19rocblas_complex_numIdES1_PKdPS1_EviT3_lT4_lT_li
; %bb.0:
	s_load_dwordx8 s[8:15], s[4:5], 0x8
	v_lshl_or_b32 v0, s6, 8, v0
	s_waitcnt lgkmcnt(0)
	s_mul_i32 s0, s11, s7
	s_mul_hi_u32 s1, s10, s7
	s_add_i32 s1, s1, s0
	s_mul_i32 s0, s10, s7
	s_lshl_b64 s[0:1], s[0:1], 3
	s_add_u32 s0, s8, s0
	s_addc_u32 s1, s9, s1
	s_load_dwordx2 s[0:1], s[0:1], 0x0
	s_waitcnt lgkmcnt(0)
	v_cmp_neq_f64_e64 s[2:3], s[0:1], 1.0
	s_load_dword s8, s[4:5], 0x0
	s_waitcnt lgkmcnt(0)
	v_cmp_gt_u32_e32 vcc, s8, v0
	s_and_b64 s[2:3], vcc, s[2:3]
	s_and_saveexec_b64 s[8:9], s[2:3]
	s_cbranch_execz .LBB36_2
; %bb.1:
	s_load_dwordx4 s[8:11], s[4:5], 0x28
	s_waitcnt lgkmcnt(0)
	s_mul_i32 s3, s11, s7
	s_mul_hi_u32 s6, s10, s7
	v_mad_u64_u32 v[1:2], s[4:5], s8, v0, 0
	s_mul_i32 s2, s10, s7
	s_add_i32 s3, s6, s3
	s_lshl_b64 s[2:3], s[2:3], 4
	s_add_u32 s4, s12, s2
	s_addc_u32 s5, s13, s3
	v_mad_u64_u32 v[2:3], s[2:3], s9, v0, v[2:3]
	s_lshl_b64 s[2:3], s[14:15], 4
	s_add_u32 s2, s4, s2
	v_lshlrev_b64 v[0:1], 4, v[1:2]
	s_addc_u32 s3, s5, s3
	v_mov_b32_e32 v2, s3
	v_add_co_u32_e32 v6, vcc, s2, v0
	v_addc_co_u32_e32 v7, vcc, v2, v1, vcc
	global_load_dwordx4 v[0:3], v[6:7], off
	s_waitcnt vmcnt(0)
	v_mul_f64 v[4:5], v[2:3], 0
	v_mul_f64 v[8:9], s[0:1], v[2:3]
	v_fma_f64 v[2:3], s[0:1], v[0:1], -v[4:5]
	v_fma_f64 v[4:5], v[0:1], 0, v[8:9]
	global_store_dwordx4 v[6:7], v[2:5], off
.LBB36_2:
	s_endpgm
	.section	.rodata,"a",@progbits
	.p2align	6, 0x0
	.amdhsa_kernel _ZL19rocblas_scal_kernelIlLi256E19rocblas_complex_numIdES1_PKdPS1_EviT3_lT4_lT_li
		.amdhsa_group_segment_fixed_size 0
		.amdhsa_private_segment_fixed_size 0
		.amdhsa_kernarg_size 60
		.amdhsa_user_sgpr_count 6
		.amdhsa_user_sgpr_private_segment_buffer 1
		.amdhsa_user_sgpr_dispatch_ptr 0
		.amdhsa_user_sgpr_queue_ptr 0
		.amdhsa_user_sgpr_kernarg_segment_ptr 1
		.amdhsa_user_sgpr_dispatch_id 0
		.amdhsa_user_sgpr_flat_scratch_init 0
		.amdhsa_user_sgpr_private_segment_size 0
		.amdhsa_uses_dynamic_stack 0
		.amdhsa_system_sgpr_private_segment_wavefront_offset 0
		.amdhsa_system_sgpr_workgroup_id_x 1
		.amdhsa_system_sgpr_workgroup_id_y 0
		.amdhsa_system_sgpr_workgroup_id_z 1
		.amdhsa_system_sgpr_workgroup_info 0
		.amdhsa_system_vgpr_workitem_id 0
		.amdhsa_next_free_vgpr 10
		.amdhsa_next_free_sgpr 16
		.amdhsa_reserve_vcc 1
		.amdhsa_reserve_flat_scratch 0
		.amdhsa_float_round_mode_32 0
		.amdhsa_float_round_mode_16_64 0
		.amdhsa_float_denorm_mode_32 3
		.amdhsa_float_denorm_mode_16_64 3
		.amdhsa_dx10_clamp 1
		.amdhsa_ieee_mode 1
		.amdhsa_fp16_overflow 0
		.amdhsa_exception_fp_ieee_invalid_op 0
		.amdhsa_exception_fp_denorm_src 0
		.amdhsa_exception_fp_ieee_div_zero 0
		.amdhsa_exception_fp_ieee_overflow 0
		.amdhsa_exception_fp_ieee_underflow 0
		.amdhsa_exception_fp_ieee_inexact 0
		.amdhsa_exception_int_div_zero 0
	.end_amdhsa_kernel
	.section	.text._ZL19rocblas_scal_kernelIlLi256E19rocblas_complex_numIdES1_PKdPS1_EviT3_lT4_lT_li,"axG",@progbits,_ZL19rocblas_scal_kernelIlLi256E19rocblas_complex_numIdES1_PKdPS1_EviT3_lT4_lT_li,comdat
.Lfunc_end36:
	.size	_ZL19rocblas_scal_kernelIlLi256E19rocblas_complex_numIdES1_PKdPS1_EviT3_lT4_lT_li, .Lfunc_end36-_ZL19rocblas_scal_kernelIlLi256E19rocblas_complex_numIdES1_PKdPS1_EviT3_lT4_lT_li
                                        ; -- End function
	.set _ZL19rocblas_scal_kernelIlLi256E19rocblas_complex_numIdES1_PKdPS1_EviT3_lT4_lT_li.num_vgpr, 10
	.set _ZL19rocblas_scal_kernelIlLi256E19rocblas_complex_numIdES1_PKdPS1_EviT3_lT4_lT_li.num_agpr, 0
	.set _ZL19rocblas_scal_kernelIlLi256E19rocblas_complex_numIdES1_PKdPS1_EviT3_lT4_lT_li.numbered_sgpr, 16
	.set _ZL19rocblas_scal_kernelIlLi256E19rocblas_complex_numIdES1_PKdPS1_EviT3_lT4_lT_li.num_named_barrier, 0
	.set _ZL19rocblas_scal_kernelIlLi256E19rocblas_complex_numIdES1_PKdPS1_EviT3_lT4_lT_li.private_seg_size, 0
	.set _ZL19rocblas_scal_kernelIlLi256E19rocblas_complex_numIdES1_PKdPS1_EviT3_lT4_lT_li.uses_vcc, 1
	.set _ZL19rocblas_scal_kernelIlLi256E19rocblas_complex_numIdES1_PKdPS1_EviT3_lT4_lT_li.uses_flat_scratch, 0
	.set _ZL19rocblas_scal_kernelIlLi256E19rocblas_complex_numIdES1_PKdPS1_EviT3_lT4_lT_li.has_dyn_sized_stack, 0
	.set _ZL19rocblas_scal_kernelIlLi256E19rocblas_complex_numIdES1_PKdPS1_EviT3_lT4_lT_li.has_recursion, 0
	.set _ZL19rocblas_scal_kernelIlLi256E19rocblas_complex_numIdES1_PKdPS1_EviT3_lT4_lT_li.has_indirect_call, 0
	.section	.AMDGPU.csdata,"",@progbits
; Kernel info:
; codeLenInByte = 240
; TotalNumSgprs: 20
; NumVgprs: 10
; ScratchSize: 0
; MemoryBound: 0
; FloatMode: 240
; IeeeMode: 1
; LDSByteSize: 0 bytes/workgroup (compile time only)
; SGPRBlocks: 2
; VGPRBlocks: 2
; NumSGPRsForWavesPerEU: 20
; NumVGPRsForWavesPerEU: 10
; Occupancy: 10
; WaveLimiterHint : 0
; COMPUTE_PGM_RSRC2:SCRATCH_EN: 0
; COMPUTE_PGM_RSRC2:USER_SGPR: 6
; COMPUTE_PGM_RSRC2:TRAP_HANDLER: 0
; COMPUTE_PGM_RSRC2:TGID_X_EN: 1
; COMPUTE_PGM_RSRC2:TGID_Y_EN: 0
; COMPUTE_PGM_RSRC2:TGID_Z_EN: 1
; COMPUTE_PGM_RSRC2:TIDIG_COMP_CNT: 0
	.section	.text._ZL19rocblas_scal_kernelIlLi256E19rocblas_complex_numIdES1_dPS1_EviT3_lT4_lT_li,"axG",@progbits,_ZL19rocblas_scal_kernelIlLi256E19rocblas_complex_numIdES1_dPS1_EviT3_lT4_lT_li,comdat
	.globl	_ZL19rocblas_scal_kernelIlLi256E19rocblas_complex_numIdES1_dPS1_EviT3_lT4_lT_li ; -- Begin function _ZL19rocblas_scal_kernelIlLi256E19rocblas_complex_numIdES1_dPS1_EviT3_lT4_lT_li
	.p2align	8
	.type	_ZL19rocblas_scal_kernelIlLi256E19rocblas_complex_numIdES1_dPS1_EviT3_lT4_lT_li,@function
_ZL19rocblas_scal_kernelIlLi256E19rocblas_complex_numIdES1_dPS1_EviT3_lT4_lT_li: ; @_ZL19rocblas_scal_kernelIlLi256E19rocblas_complex_numIdES1_dPS1_EviT3_lT4_lT_li
; %bb.0:
	s_load_dwordx2 s[0:1], s[4:5], 0x8
	s_load_dword s8, s[4:5], 0x0
	v_lshl_or_b32 v0, s6, 8, v0
	s_waitcnt lgkmcnt(0)
	v_cmp_neq_f64_e64 s[2:3], s[0:1], 1.0
	v_cmp_gt_u32_e32 vcc, s8, v0
	s_and_b64 s[2:3], vcc, s[2:3]
	s_and_saveexec_b64 s[8:9], s[2:3]
	s_cbranch_execz .LBB37_2
; %bb.1:
	s_load_dwordx8 s[8:15], s[4:5], 0x18
	s_waitcnt lgkmcnt(0)
	s_mul_i32 s3, s15, s7
	s_mul_hi_u32 s6, s14, s7
	v_mad_u64_u32 v[1:2], s[4:5], s12, v0, 0
	s_mul_i32 s2, s14, s7
	s_add_i32 s3, s6, s3
	s_lshl_b64 s[2:3], s[2:3], 4
	s_add_u32 s4, s8, s2
	s_addc_u32 s5, s9, s3
	v_mad_u64_u32 v[2:3], s[2:3], s13, v0, v[2:3]
	s_lshl_b64 s[2:3], s[10:11], 4
	s_add_u32 s2, s4, s2
	v_lshlrev_b64 v[0:1], 4, v[1:2]
	s_addc_u32 s3, s5, s3
	v_mov_b32_e32 v2, s3
	v_add_co_u32_e32 v6, vcc, s2, v0
	v_addc_co_u32_e32 v7, vcc, v2, v1, vcc
	global_load_dwordx4 v[0:3], v[6:7], off
	s_waitcnt vmcnt(0)
	v_mul_f64 v[4:5], v[2:3], 0
	v_mul_f64 v[8:9], s[0:1], v[2:3]
	v_fma_f64 v[2:3], s[0:1], v[0:1], -v[4:5]
	v_fma_f64 v[4:5], v[0:1], 0, v[8:9]
	global_store_dwordx4 v[6:7], v[2:5], off
.LBB37_2:
	s_endpgm
	.section	.rodata,"a",@progbits
	.p2align	6, 0x0
	.amdhsa_kernel _ZL19rocblas_scal_kernelIlLi256E19rocblas_complex_numIdES1_dPS1_EviT3_lT4_lT_li
		.amdhsa_group_segment_fixed_size 0
		.amdhsa_private_segment_fixed_size 0
		.amdhsa_kernarg_size 60
		.amdhsa_user_sgpr_count 6
		.amdhsa_user_sgpr_private_segment_buffer 1
		.amdhsa_user_sgpr_dispatch_ptr 0
		.amdhsa_user_sgpr_queue_ptr 0
		.amdhsa_user_sgpr_kernarg_segment_ptr 1
		.amdhsa_user_sgpr_dispatch_id 0
		.amdhsa_user_sgpr_flat_scratch_init 0
		.amdhsa_user_sgpr_private_segment_size 0
		.amdhsa_uses_dynamic_stack 0
		.amdhsa_system_sgpr_private_segment_wavefront_offset 0
		.amdhsa_system_sgpr_workgroup_id_x 1
		.amdhsa_system_sgpr_workgroup_id_y 0
		.amdhsa_system_sgpr_workgroup_id_z 1
		.amdhsa_system_sgpr_workgroup_info 0
		.amdhsa_system_vgpr_workitem_id 0
		.amdhsa_next_free_vgpr 10
		.amdhsa_next_free_sgpr 16
		.amdhsa_reserve_vcc 1
		.amdhsa_reserve_flat_scratch 0
		.amdhsa_float_round_mode_32 0
		.amdhsa_float_round_mode_16_64 0
		.amdhsa_float_denorm_mode_32 3
		.amdhsa_float_denorm_mode_16_64 3
		.amdhsa_dx10_clamp 1
		.amdhsa_ieee_mode 1
		.amdhsa_fp16_overflow 0
		.amdhsa_exception_fp_ieee_invalid_op 0
		.amdhsa_exception_fp_denorm_src 0
		.amdhsa_exception_fp_ieee_div_zero 0
		.amdhsa_exception_fp_ieee_overflow 0
		.amdhsa_exception_fp_ieee_underflow 0
		.amdhsa_exception_fp_ieee_inexact 0
		.amdhsa_exception_int_div_zero 0
	.end_amdhsa_kernel
	.section	.text._ZL19rocblas_scal_kernelIlLi256E19rocblas_complex_numIdES1_dPS1_EviT3_lT4_lT_li,"axG",@progbits,_ZL19rocblas_scal_kernelIlLi256E19rocblas_complex_numIdES1_dPS1_EviT3_lT4_lT_li,comdat
.Lfunc_end37:
	.size	_ZL19rocblas_scal_kernelIlLi256E19rocblas_complex_numIdES1_dPS1_EviT3_lT4_lT_li, .Lfunc_end37-_ZL19rocblas_scal_kernelIlLi256E19rocblas_complex_numIdES1_dPS1_EviT3_lT4_lT_li
                                        ; -- End function
	.set _ZL19rocblas_scal_kernelIlLi256E19rocblas_complex_numIdES1_dPS1_EviT3_lT4_lT_li.num_vgpr, 10
	.set _ZL19rocblas_scal_kernelIlLi256E19rocblas_complex_numIdES1_dPS1_EviT3_lT4_lT_li.num_agpr, 0
	.set _ZL19rocblas_scal_kernelIlLi256E19rocblas_complex_numIdES1_dPS1_EviT3_lT4_lT_li.numbered_sgpr, 16
	.set _ZL19rocblas_scal_kernelIlLi256E19rocblas_complex_numIdES1_dPS1_EviT3_lT4_lT_li.num_named_barrier, 0
	.set _ZL19rocblas_scal_kernelIlLi256E19rocblas_complex_numIdES1_dPS1_EviT3_lT4_lT_li.private_seg_size, 0
	.set _ZL19rocblas_scal_kernelIlLi256E19rocblas_complex_numIdES1_dPS1_EviT3_lT4_lT_li.uses_vcc, 1
	.set _ZL19rocblas_scal_kernelIlLi256E19rocblas_complex_numIdES1_dPS1_EviT3_lT4_lT_li.uses_flat_scratch, 0
	.set _ZL19rocblas_scal_kernelIlLi256E19rocblas_complex_numIdES1_dPS1_EviT3_lT4_lT_li.has_dyn_sized_stack, 0
	.set _ZL19rocblas_scal_kernelIlLi256E19rocblas_complex_numIdES1_dPS1_EviT3_lT4_lT_li.has_recursion, 0
	.set _ZL19rocblas_scal_kernelIlLi256E19rocblas_complex_numIdES1_dPS1_EviT3_lT4_lT_li.has_indirect_call, 0
	.section	.AMDGPU.csdata,"",@progbits
; Kernel info:
; codeLenInByte = 196
; TotalNumSgprs: 20
; NumVgprs: 10
; ScratchSize: 0
; MemoryBound: 0
; FloatMode: 240
; IeeeMode: 1
; LDSByteSize: 0 bytes/workgroup (compile time only)
; SGPRBlocks: 2
; VGPRBlocks: 2
; NumSGPRsForWavesPerEU: 20
; NumVGPRsForWavesPerEU: 10
; Occupancy: 10
; WaveLimiterHint : 0
; COMPUTE_PGM_RSRC2:SCRATCH_EN: 0
; COMPUTE_PGM_RSRC2:USER_SGPR: 6
; COMPUTE_PGM_RSRC2:TRAP_HANDLER: 0
; COMPUTE_PGM_RSRC2:TGID_X_EN: 1
; COMPUTE_PGM_RSRC2:TGID_Y_EN: 0
; COMPUTE_PGM_RSRC2:TGID_Z_EN: 1
; COMPUTE_PGM_RSRC2:TIDIG_COMP_CNT: 0
	.section	.text._ZL22rocblas_sscal_2_kernelILi256EDF16_DF16_PKDF16_PKPDF16_EviT2_lT3_lli,"axG",@progbits,_ZL22rocblas_sscal_2_kernelILi256EDF16_DF16_PKDF16_PKPDF16_EviT2_lT3_lli,comdat
	.globl	_ZL22rocblas_sscal_2_kernelILi256EDF16_DF16_PKDF16_PKPDF16_EviT2_lT3_lli ; -- Begin function _ZL22rocblas_sscal_2_kernelILi256EDF16_DF16_PKDF16_PKPDF16_EviT2_lT3_lli
	.p2align	8
	.type	_ZL22rocblas_sscal_2_kernelILi256EDF16_DF16_PKDF16_PKPDF16_EviT2_lT3_lli,@function
_ZL22rocblas_sscal_2_kernelILi256EDF16_DF16_PKDF16_PKPDF16_EviT2_lT3_lli: ; @_ZL22rocblas_sscal_2_kernelILi256EDF16_DF16_PKDF16_PKPDF16_EviT2_lT3_lli
; %bb.0:
	s_load_dwordx4 s[8:11], s[4:5], 0x8
	v_mov_b32_e32 v1, 0
	s_waitcnt lgkmcnt(0)
	s_mul_i32 s1, s11, s7
	s_mul_hi_u32 s2, s10, s7
	s_add_i32 s3, s2, s1
	s_mul_i32 s2, s10, s7
	s_lshl_b64 s[2:3], s[2:3], 1
	s_add_u32 s2, s8, s2
	s_addc_u32 s3, s9, s3
	global_load_ushort v2, v1, s[2:3]
	s_waitcnt vmcnt(0)
	v_cmp_eq_f16_e32 vcc, 1.0, v2
	s_cbranch_vccnz .LBB38_5
; %bb.1:
	s_load_dwordx4 s[8:11], s[4:5], 0x18
	s_load_dword s2, s[4:5], 0x0
	s_mov_b32 s0, s7
	s_mov_b32 s1, 0
	s_lshl_b64 s[0:1], s[0:1], 3
	s_waitcnt lgkmcnt(0)
	s_add_u32 s0, s8, s0
	s_addc_u32 s1, s9, s1
	s_load_dwordx2 s[0:1], s[0:1], 0x0
	v_lshlrev_b32_e32 v0, 1, v0
	v_lshl_or_b32 v0, s6, 9, v0
	s_lshl_b64 s[4:5], s[10:11], 1
	v_or_b32_e32 v1, 1, v0
	s_waitcnt lgkmcnt(0)
	s_add_u32 s3, s0, s4
	s_addc_u32 s4, s1, s5
	v_cmp_gt_u32_e32 vcc, s2, v1
	s_and_saveexec_b64 s[0:1], vcc
	s_cbranch_execz .LBB38_3
; %bb.2:
	v_mov_b32_e32 v1, 0
	v_lshlrev_b64 v[3:4], 1, v[0:1]
	v_mov_b32_e32 v1, s4
	v_add_co_u32_e32 v3, vcc, s3, v3
	v_addc_co_u32_e32 v4, vcc, v1, v4, vcc
	flat_load_dword v1, v[3:4]
	s_waitcnt vmcnt(0) lgkmcnt(0)
	v_pk_mul_f16 v1, v2, v1 op_sel_hi:[0,1]
	flat_store_dword v[3:4], v1
.LBB38_3:
	s_or_b64 exec, exec, s[0:1]
	s_bitcmp1_b32 s2, 0
	s_cselect_b64 s[0:1], -1, 0
	s_add_i32 s2, s2, -1
	v_cmp_eq_u32_e32 vcc, s2, v0
	s_and_b64 s[0:1], s[0:1], vcc
	s_and_saveexec_b64 s[6:7], s[0:1]
	s_cbranch_execz .LBB38_5
; %bb.4:
	v_mov_b32_e32 v1, 0
	v_lshlrev_b64 v[0:1], 1, v[0:1]
	v_mov_b32_e32 v3, s4
	v_add_co_u32_e32 v0, vcc, s3, v0
	v_addc_co_u32_e32 v1, vcc, v3, v1, vcc
	flat_load_ushort v3, v[0:1]
	s_waitcnt vmcnt(0) lgkmcnt(0)
	v_mul_f16_e32 v2, v2, v3
	flat_store_short v[0:1], v2
.LBB38_5:
	s_endpgm
	.section	.rodata,"a",@progbits
	.p2align	6, 0x0
	.amdhsa_kernel _ZL22rocblas_sscal_2_kernelILi256EDF16_DF16_PKDF16_PKPDF16_EviT2_lT3_lli
		.amdhsa_group_segment_fixed_size 0
		.amdhsa_private_segment_fixed_size 0
		.amdhsa_kernarg_size 52
		.amdhsa_user_sgpr_count 6
		.amdhsa_user_sgpr_private_segment_buffer 1
		.amdhsa_user_sgpr_dispatch_ptr 0
		.amdhsa_user_sgpr_queue_ptr 0
		.amdhsa_user_sgpr_kernarg_segment_ptr 1
		.amdhsa_user_sgpr_dispatch_id 0
		.amdhsa_user_sgpr_flat_scratch_init 0
		.amdhsa_user_sgpr_private_segment_size 0
		.amdhsa_uses_dynamic_stack 0
		.amdhsa_system_sgpr_private_segment_wavefront_offset 0
		.amdhsa_system_sgpr_workgroup_id_x 1
		.amdhsa_system_sgpr_workgroup_id_y 0
		.amdhsa_system_sgpr_workgroup_id_z 1
		.amdhsa_system_sgpr_workgroup_info 0
		.amdhsa_system_vgpr_workitem_id 0
		.amdhsa_next_free_vgpr 5
		.amdhsa_next_free_sgpr 12
		.amdhsa_reserve_vcc 1
		.amdhsa_reserve_flat_scratch 0
		.amdhsa_float_round_mode_32 0
		.amdhsa_float_round_mode_16_64 0
		.amdhsa_float_denorm_mode_32 3
		.amdhsa_float_denorm_mode_16_64 3
		.amdhsa_dx10_clamp 1
		.amdhsa_ieee_mode 1
		.amdhsa_fp16_overflow 0
		.amdhsa_exception_fp_ieee_invalid_op 0
		.amdhsa_exception_fp_denorm_src 0
		.amdhsa_exception_fp_ieee_div_zero 0
		.amdhsa_exception_fp_ieee_overflow 0
		.amdhsa_exception_fp_ieee_underflow 0
		.amdhsa_exception_fp_ieee_inexact 0
		.amdhsa_exception_int_div_zero 0
	.end_amdhsa_kernel
	.section	.text._ZL22rocblas_sscal_2_kernelILi256EDF16_DF16_PKDF16_PKPDF16_EviT2_lT3_lli,"axG",@progbits,_ZL22rocblas_sscal_2_kernelILi256EDF16_DF16_PKDF16_PKPDF16_EviT2_lT3_lli,comdat
.Lfunc_end38:
	.size	_ZL22rocblas_sscal_2_kernelILi256EDF16_DF16_PKDF16_PKPDF16_EviT2_lT3_lli, .Lfunc_end38-_ZL22rocblas_sscal_2_kernelILi256EDF16_DF16_PKDF16_PKPDF16_EviT2_lT3_lli
                                        ; -- End function
	.set _ZL22rocblas_sscal_2_kernelILi256EDF16_DF16_PKDF16_PKPDF16_EviT2_lT3_lli.num_vgpr, 5
	.set _ZL22rocblas_sscal_2_kernelILi256EDF16_DF16_PKDF16_PKPDF16_EviT2_lT3_lli.num_agpr, 0
	.set _ZL22rocblas_sscal_2_kernelILi256EDF16_DF16_PKDF16_PKPDF16_EviT2_lT3_lli.numbered_sgpr, 12
	.set _ZL22rocblas_sscal_2_kernelILi256EDF16_DF16_PKDF16_PKPDF16_EviT2_lT3_lli.num_named_barrier, 0
	.set _ZL22rocblas_sscal_2_kernelILi256EDF16_DF16_PKDF16_PKPDF16_EviT2_lT3_lli.private_seg_size, 0
	.set _ZL22rocblas_sscal_2_kernelILi256EDF16_DF16_PKDF16_PKPDF16_EviT2_lT3_lli.uses_vcc, 1
	.set _ZL22rocblas_sscal_2_kernelILi256EDF16_DF16_PKDF16_PKPDF16_EviT2_lT3_lli.uses_flat_scratch, 0
	.set _ZL22rocblas_sscal_2_kernelILi256EDF16_DF16_PKDF16_PKPDF16_EviT2_lT3_lli.has_dyn_sized_stack, 0
	.set _ZL22rocblas_sscal_2_kernelILi256EDF16_DF16_PKDF16_PKPDF16_EviT2_lT3_lli.has_recursion, 0
	.set _ZL22rocblas_sscal_2_kernelILi256EDF16_DF16_PKDF16_PKPDF16_EviT2_lT3_lli.has_indirect_call, 0
	.section	.AMDGPU.csdata,"",@progbits
; Kernel info:
; codeLenInByte = 292
; TotalNumSgprs: 16
; NumVgprs: 5
; ScratchSize: 0
; MemoryBound: 0
; FloatMode: 240
; IeeeMode: 1
; LDSByteSize: 0 bytes/workgroup (compile time only)
; SGPRBlocks: 1
; VGPRBlocks: 1
; NumSGPRsForWavesPerEU: 16
; NumVGPRsForWavesPerEU: 5
; Occupancy: 10
; WaveLimiterHint : 1
; COMPUTE_PGM_RSRC2:SCRATCH_EN: 0
; COMPUTE_PGM_RSRC2:USER_SGPR: 6
; COMPUTE_PGM_RSRC2:TRAP_HANDLER: 0
; COMPUTE_PGM_RSRC2:TGID_X_EN: 1
; COMPUTE_PGM_RSRC2:TGID_Y_EN: 0
; COMPUTE_PGM_RSRC2:TGID_Z_EN: 1
; COMPUTE_PGM_RSRC2:TIDIG_COMP_CNT: 0
	.section	.text._ZL22rocblas_sscal_2_kernelILi256EDF16_DF16_DF16_PKPDF16_EviT2_lT3_lli,"axG",@progbits,_ZL22rocblas_sscal_2_kernelILi256EDF16_DF16_DF16_PKPDF16_EviT2_lT3_lli,comdat
	.globl	_ZL22rocblas_sscal_2_kernelILi256EDF16_DF16_DF16_PKPDF16_EviT2_lT3_lli ; -- Begin function _ZL22rocblas_sscal_2_kernelILi256EDF16_DF16_DF16_PKPDF16_EviT2_lT3_lli
	.p2align	8
	.type	_ZL22rocblas_sscal_2_kernelILi256EDF16_DF16_DF16_PKPDF16_EviT2_lT3_lli,@function
_ZL22rocblas_sscal_2_kernelILi256EDF16_DF16_DF16_PKPDF16_EviT2_lT3_lli: ; @_ZL22rocblas_sscal_2_kernelILi256EDF16_DF16_DF16_PKPDF16_EviT2_lT3_lli
; %bb.0:
	s_load_dwordx2 s[0:1], s[4:5], 0x0
	s_waitcnt lgkmcnt(0)
	v_cmp_eq_f16_e64 s[8:9], s1, 1.0
	s_and_b64 vcc, exec, s[8:9]
	s_cbranch_vccnz .LBB39_5
; %bb.1:
	s_load_dwordx4 s[8:11], s[4:5], 0x10
	s_mov_b32 s2, s7
	s_mov_b32 s3, 0
	s_lshl_b64 s[2:3], s[2:3], 3
	v_lshlrev_b32_e32 v0, 1, v0
	s_waitcnt lgkmcnt(0)
	s_add_u32 s2, s8, s2
	s_addc_u32 s3, s9, s3
	s_load_dwordx2 s[2:3], s[2:3], 0x0
	v_lshl_or_b32 v0, s6, 9, v0
	s_lshl_b64 s[4:5], s[10:11], 1
	v_or_b32_e32 v1, 1, v0
	v_cmp_gt_u32_e32 vcc, s0, v1
	s_waitcnt lgkmcnt(0)
	s_add_u32 s4, s2, s4
	s_addc_u32 s5, s3, s5
	s_and_saveexec_b64 s[2:3], vcc
	s_cbranch_execz .LBB39_3
; %bb.2:
	v_mov_b32_e32 v1, 0
	v_lshlrev_b64 v[1:2], 1, v[0:1]
	v_mov_b32_e32 v3, s5
	v_add_co_u32_e32 v1, vcc, s4, v1
	v_addc_co_u32_e32 v2, vcc, v3, v2, vcc
	flat_load_dword v3, v[1:2]
	s_waitcnt vmcnt(0) lgkmcnt(0)
	v_pk_mul_f16 v3, s1, v3 op_sel_hi:[0,1]
	flat_store_dword v[1:2], v3
.LBB39_3:
	s_or_b64 exec, exec, s[2:3]
	s_bitcmp1_b32 s0, 0
	s_cselect_b64 s[2:3], -1, 0
	s_add_i32 s0, s0, -1
	v_cmp_eq_u32_e32 vcc, s0, v0
	s_and_b64 s[2:3], s[2:3], vcc
	s_and_saveexec_b64 s[6:7], s[2:3]
	s_cbranch_execz .LBB39_5
; %bb.4:
	v_mov_b32_e32 v1, 0
	v_lshlrev_b64 v[0:1], 1, v[0:1]
	v_mov_b32_e32 v2, s5
	v_add_co_u32_e32 v0, vcc, s4, v0
	v_addc_co_u32_e32 v1, vcc, v2, v1, vcc
	flat_load_ushort v2, v[0:1]
	s_waitcnt vmcnt(0) lgkmcnt(0)
	v_mul_f16_e32 v2, s1, v2
	flat_store_short v[0:1], v2
.LBB39_5:
	s_endpgm
	.section	.rodata,"a",@progbits
	.p2align	6, 0x0
	.amdhsa_kernel _ZL22rocblas_sscal_2_kernelILi256EDF16_DF16_DF16_PKPDF16_EviT2_lT3_lli
		.amdhsa_group_segment_fixed_size 0
		.amdhsa_private_segment_fixed_size 0
		.amdhsa_kernarg_size 44
		.amdhsa_user_sgpr_count 6
		.amdhsa_user_sgpr_private_segment_buffer 1
		.amdhsa_user_sgpr_dispatch_ptr 0
		.amdhsa_user_sgpr_queue_ptr 0
		.amdhsa_user_sgpr_kernarg_segment_ptr 1
		.amdhsa_user_sgpr_dispatch_id 0
		.amdhsa_user_sgpr_flat_scratch_init 0
		.amdhsa_user_sgpr_private_segment_size 0
		.amdhsa_uses_dynamic_stack 0
		.amdhsa_system_sgpr_private_segment_wavefront_offset 0
		.amdhsa_system_sgpr_workgroup_id_x 1
		.amdhsa_system_sgpr_workgroup_id_y 0
		.amdhsa_system_sgpr_workgroup_id_z 1
		.amdhsa_system_sgpr_workgroup_info 0
		.amdhsa_system_vgpr_workitem_id 0
		.amdhsa_next_free_vgpr 4
		.amdhsa_next_free_sgpr 12
		.amdhsa_reserve_vcc 1
		.amdhsa_reserve_flat_scratch 0
		.amdhsa_float_round_mode_32 0
		.amdhsa_float_round_mode_16_64 0
		.amdhsa_float_denorm_mode_32 3
		.amdhsa_float_denorm_mode_16_64 3
		.amdhsa_dx10_clamp 1
		.amdhsa_ieee_mode 1
		.amdhsa_fp16_overflow 0
		.amdhsa_exception_fp_ieee_invalid_op 0
		.amdhsa_exception_fp_denorm_src 0
		.amdhsa_exception_fp_ieee_div_zero 0
		.amdhsa_exception_fp_ieee_overflow 0
		.amdhsa_exception_fp_ieee_underflow 0
		.amdhsa_exception_fp_ieee_inexact 0
		.amdhsa_exception_int_div_zero 0
	.end_amdhsa_kernel
	.section	.text._ZL22rocblas_sscal_2_kernelILi256EDF16_DF16_DF16_PKPDF16_EviT2_lT3_lli,"axG",@progbits,_ZL22rocblas_sscal_2_kernelILi256EDF16_DF16_DF16_PKPDF16_EviT2_lT3_lli,comdat
.Lfunc_end39:
	.size	_ZL22rocblas_sscal_2_kernelILi256EDF16_DF16_DF16_PKPDF16_EviT2_lT3_lli, .Lfunc_end39-_ZL22rocblas_sscal_2_kernelILi256EDF16_DF16_DF16_PKPDF16_EviT2_lT3_lli
                                        ; -- End function
	.set _ZL22rocblas_sscal_2_kernelILi256EDF16_DF16_DF16_PKPDF16_EviT2_lT3_lli.num_vgpr, 4
	.set _ZL22rocblas_sscal_2_kernelILi256EDF16_DF16_DF16_PKPDF16_EviT2_lT3_lli.num_agpr, 0
	.set _ZL22rocblas_sscal_2_kernelILi256EDF16_DF16_DF16_PKPDF16_EviT2_lT3_lli.numbered_sgpr, 12
	.set _ZL22rocblas_sscal_2_kernelILi256EDF16_DF16_DF16_PKPDF16_EviT2_lT3_lli.num_named_barrier, 0
	.set _ZL22rocblas_sscal_2_kernelILi256EDF16_DF16_DF16_PKPDF16_EviT2_lT3_lli.private_seg_size, 0
	.set _ZL22rocblas_sscal_2_kernelILi256EDF16_DF16_DF16_PKPDF16_EviT2_lT3_lli.uses_vcc, 1
	.set _ZL22rocblas_sscal_2_kernelILi256EDF16_DF16_DF16_PKPDF16_EviT2_lT3_lli.uses_flat_scratch, 0
	.set _ZL22rocblas_sscal_2_kernelILi256EDF16_DF16_DF16_PKPDF16_EviT2_lT3_lli.has_dyn_sized_stack, 0
	.set _ZL22rocblas_sscal_2_kernelILi256EDF16_DF16_DF16_PKPDF16_EviT2_lT3_lli.has_recursion, 0
	.set _ZL22rocblas_sscal_2_kernelILi256EDF16_DF16_DF16_PKPDF16_EviT2_lT3_lli.has_indirect_call, 0
	.section	.AMDGPU.csdata,"",@progbits
; Kernel info:
; codeLenInByte = 248
; TotalNumSgprs: 16
; NumVgprs: 4
; ScratchSize: 0
; MemoryBound: 0
; FloatMode: 240
; IeeeMode: 1
; LDSByteSize: 0 bytes/workgroup (compile time only)
; SGPRBlocks: 1
; VGPRBlocks: 0
; NumSGPRsForWavesPerEU: 16
; NumVGPRsForWavesPerEU: 4
; Occupancy: 10
; WaveLimiterHint : 1
; COMPUTE_PGM_RSRC2:SCRATCH_EN: 0
; COMPUTE_PGM_RSRC2:USER_SGPR: 6
; COMPUTE_PGM_RSRC2:TRAP_HANDLER: 0
; COMPUTE_PGM_RSRC2:TGID_X_EN: 1
; COMPUTE_PGM_RSRC2:TGID_Y_EN: 0
; COMPUTE_PGM_RSRC2:TGID_Z_EN: 1
; COMPUTE_PGM_RSRC2:TIDIG_COMP_CNT: 0
	.section	.text._ZL26rocblas_hscal_mlt_4_kernelILi256EPKDF16_PKPDF16_EviiiT0_lT1_lli,"axG",@progbits,_ZL26rocblas_hscal_mlt_4_kernelILi256EPKDF16_PKPDF16_EviiiT0_lT1_lli,comdat
	.globl	_ZL26rocblas_hscal_mlt_4_kernelILi256EPKDF16_PKPDF16_EviiiT0_lT1_lli ; -- Begin function _ZL26rocblas_hscal_mlt_4_kernelILi256EPKDF16_PKPDF16_EviiiT0_lT1_lli
	.p2align	8
	.type	_ZL26rocblas_hscal_mlt_4_kernelILi256EPKDF16_PKPDF16_EviiiT0_lT1_lli,@function
_ZL26rocblas_hscal_mlt_4_kernelILi256EPKDF16_PKPDF16_EviiiT0_lT1_lli: ; @_ZL26rocblas_hscal_mlt_4_kernelILi256EPKDF16_PKPDF16_EviiiT0_lT1_lli
; %bb.0:
	s_load_dwordx4 s[0:3], s[4:5], 0x10
	s_mov_b32 s12, s7
	v_mov_b32_e32 v1, 0
	s_waitcnt lgkmcnt(0)
	s_mul_i32 s3, s3, s7
	s_mul_hi_u32 s7, s2, s7
	s_add_i32 s3, s7, s3
	s_mul_i32 s2, s2, s12
	s_lshl_b64 s[2:3], s[2:3], 1
	s_add_u32 s0, s0, s2
	s_addc_u32 s1, s1, s3
	global_load_ushort v2, v1, s[0:1]
	s_waitcnt vmcnt(0)
	v_cmp_eq_f16_e32 vcc, 1.0, v2
	s_cbranch_vccnz .LBB40_12
; %bb.1:
	s_load_dwordx4 s[8:11], s[4:5], 0x20
	s_load_dwordx4 s[0:3], s[4:5], 0x0
	v_lshlrev_b32_e32 v0, 2, v0
	v_lshl_or_b32 v0, s6, 10, v0
	v_or_b32_e32 v1, 3, v0
	s_mov_b32 s13, 0
	s_waitcnt lgkmcnt(0)
	v_cmp_gt_u32_e32 vcc, s0, v1
	s_and_saveexec_b64 s[4:5], vcc
	s_cbranch_execz .LBB40_3
; %bb.2:
	s_lshl_b64 s[6:7], s[12:13], 3
	s_add_u32 s6, s8, s6
	s_addc_u32 s7, s9, s7
	s_load_dwordx2 s[6:7], s[6:7], 0x0
	v_mov_b32_e32 v1, 0
	s_lshl_b64 s[14:15], s[10:11], 1
	v_lshlrev_b64 v[3:4], 1, v[0:1]
	s_waitcnt lgkmcnt(0)
	s_add_u32 s0, s6, s14
	s_addc_u32 s3, s7, s15
	v_mov_b32_e32 v1, s3
	v_add_co_u32_e32 v3, vcc, s0, v3
	v_addc_co_u32_e32 v4, vcc, v1, v4, vcc
	flat_load_dwordx2 v[5:6], v[3:4]
	s_waitcnt vmcnt(0) lgkmcnt(0)
	v_pk_mul_f16 v6, v2, v6 op_sel_hi:[0,1]
	v_pk_mul_f16 v5, v2, v5 op_sel_hi:[0,1]
	flat_store_dwordx2 v[3:4], v[5:6]
.LBB40_3:
	s_or_b64 exec, exec, s[4:5]
	s_cmp_lg_u32 s1, 0
	s_cselect_b64 s[4:5], -1, 0
	v_cmp_eq_u32_e32 vcc, s2, v0
	s_and_b64 s[4:5], s[4:5], vcc
	s_and_saveexec_b64 s[6:7], s[4:5]
	s_cbranch_execz .LBB40_12
; %bb.4:
	s_cmp_lt_i32 s1, 1
	s_cbranch_scc1 .LBB40_12
; %bb.5:
	s_lshl_b64 s[4:5], s[12:13], 3
	s_add_u32 s4, s8, s4
	s_addc_u32 s5, s9, s5
	s_load_dwordx2 s[4:5], s[4:5], 0x0
	s_lshl_b64 s[6:7], s[10:11], 1
	s_mov_b32 s0, 0
	s_waitcnt lgkmcnt(0)
	s_add_u32 s3, s4, s6
	s_addc_u32 s6, s5, s7
	s_cmp_lt_u32 s1, 4
	s_cselect_b64 s[4:5], -1, 0
	s_sub_i32 s7, 0, s1
	s_cmp_gt_u32 s2, s7
	s_cselect_b64 s[8:9], -1, 0
	s_or_b64 s[8:9], s[4:5], s[8:9]
	s_mov_b64 s[4:5], -1
	s_and_b64 vcc, exec, s[8:9]
	s_cbranch_vccnz .LBB40_9
; %bb.6:
	s_and_b32 s0, s1, 0x7ffffffe
	v_and_b32_e32 v0, 0xffff, v2
	v_lshl_or_b32 v0, v2, 16, v0
	s_mov_b32 s5, 0
	s_mov_b32 s4, s2
	s_mov_b32 s7, s0
.LBB40_7:                               ; =>This Inner Loop Header: Depth=1
	s_lshl_b64 s[8:9], s[4:5], 1
	s_add_u32 s8, s3, s8
	s_addc_u32 s9, s6, s9
	v_mov_b32_e32 v3, s8
	v_mov_b32_e32 v4, s9
	flat_load_dword v1, v[3:4]
	s_add_i32 s7, s7, -2
	s_add_i32 s4, s4, 2
	s_cmp_lg_u32 s7, 0
	s_waitcnt vmcnt(0) lgkmcnt(0)
	v_pk_mul_f16 v1, v0, v1
	flat_store_dword v[3:4], v1
	s_cbranch_scc1 .LBB40_7
; %bb.8:
	s_cmp_lg_u32 s1, s0
	s_cselect_b64 s[4:5], -1, 0
.LBB40_9:
	s_and_b64 vcc, exec, s[4:5]
	s_cbranch_vccz .LBB40_12
; %bb.10:
	s_sub_i32 s4, s1, s0
	s_add_i32 s0, s0, s2
	s_mov_b32 s1, 0
.LBB40_11:                              ; =>This Inner Loop Header: Depth=1
	s_lshl_b64 s[8:9], s[0:1], 1
	s_add_u32 s8, s3, s8
	s_addc_u32 s9, s6, s9
	v_mov_b32_e32 v0, s8
	v_mov_b32_e32 v1, s9
	flat_load_ushort v3, v[0:1]
	s_add_i32 s4, s4, -1
	s_add_i32 s0, s0, 1
	s_cmp_lg_u32 s4, 0
	s_waitcnt vmcnt(0) lgkmcnt(0)
	v_mul_f16_e32 v3, v2, v3
	flat_store_short v[0:1], v3
	s_cbranch_scc1 .LBB40_11
.LBB40_12:
	s_endpgm
	.section	.rodata,"a",@progbits
	.p2align	6, 0x0
	.amdhsa_kernel _ZL26rocblas_hscal_mlt_4_kernelILi256EPKDF16_PKPDF16_EviiiT0_lT1_lli
		.amdhsa_group_segment_fixed_size 0
		.amdhsa_private_segment_fixed_size 0
		.amdhsa_kernarg_size 60
		.amdhsa_user_sgpr_count 6
		.amdhsa_user_sgpr_private_segment_buffer 1
		.amdhsa_user_sgpr_dispatch_ptr 0
		.amdhsa_user_sgpr_queue_ptr 0
		.amdhsa_user_sgpr_kernarg_segment_ptr 1
		.amdhsa_user_sgpr_dispatch_id 0
		.amdhsa_user_sgpr_flat_scratch_init 0
		.amdhsa_user_sgpr_private_segment_size 0
		.amdhsa_uses_dynamic_stack 0
		.amdhsa_system_sgpr_private_segment_wavefront_offset 0
		.amdhsa_system_sgpr_workgroup_id_x 1
		.amdhsa_system_sgpr_workgroup_id_y 0
		.amdhsa_system_sgpr_workgroup_id_z 1
		.amdhsa_system_sgpr_workgroup_info 0
		.amdhsa_system_vgpr_workitem_id 0
		.amdhsa_next_free_vgpr 7
		.amdhsa_next_free_sgpr 16
		.amdhsa_reserve_vcc 1
		.amdhsa_reserve_flat_scratch 0
		.amdhsa_float_round_mode_32 0
		.amdhsa_float_round_mode_16_64 0
		.amdhsa_float_denorm_mode_32 3
		.amdhsa_float_denorm_mode_16_64 3
		.amdhsa_dx10_clamp 1
		.amdhsa_ieee_mode 1
		.amdhsa_fp16_overflow 0
		.amdhsa_exception_fp_ieee_invalid_op 0
		.amdhsa_exception_fp_denorm_src 0
		.amdhsa_exception_fp_ieee_div_zero 0
		.amdhsa_exception_fp_ieee_overflow 0
		.amdhsa_exception_fp_ieee_underflow 0
		.amdhsa_exception_fp_ieee_inexact 0
		.amdhsa_exception_int_div_zero 0
	.end_amdhsa_kernel
	.section	.text._ZL26rocblas_hscal_mlt_4_kernelILi256EPKDF16_PKPDF16_EviiiT0_lT1_lli,"axG",@progbits,_ZL26rocblas_hscal_mlt_4_kernelILi256EPKDF16_PKPDF16_EviiiT0_lT1_lli,comdat
.Lfunc_end40:
	.size	_ZL26rocblas_hscal_mlt_4_kernelILi256EPKDF16_PKPDF16_EviiiT0_lT1_lli, .Lfunc_end40-_ZL26rocblas_hscal_mlt_4_kernelILi256EPKDF16_PKPDF16_EviiiT0_lT1_lli
                                        ; -- End function
	.set _ZL26rocblas_hscal_mlt_4_kernelILi256EPKDF16_PKPDF16_EviiiT0_lT1_lli.num_vgpr, 7
	.set _ZL26rocblas_hscal_mlt_4_kernelILi256EPKDF16_PKPDF16_EviiiT0_lT1_lli.num_agpr, 0
	.set _ZL26rocblas_hscal_mlt_4_kernelILi256EPKDF16_PKPDF16_EviiiT0_lT1_lli.numbered_sgpr, 16
	.set _ZL26rocblas_hscal_mlt_4_kernelILi256EPKDF16_PKPDF16_EviiiT0_lT1_lli.num_named_barrier, 0
	.set _ZL26rocblas_hscal_mlt_4_kernelILi256EPKDF16_PKPDF16_EviiiT0_lT1_lli.private_seg_size, 0
	.set _ZL26rocblas_hscal_mlt_4_kernelILi256EPKDF16_PKPDF16_EviiiT0_lT1_lli.uses_vcc, 1
	.set _ZL26rocblas_hscal_mlt_4_kernelILi256EPKDF16_PKPDF16_EviiiT0_lT1_lli.uses_flat_scratch, 0
	.set _ZL26rocblas_hscal_mlt_4_kernelILi256EPKDF16_PKPDF16_EviiiT0_lT1_lli.has_dyn_sized_stack, 0
	.set _ZL26rocblas_hscal_mlt_4_kernelILi256EPKDF16_PKPDF16_EviiiT0_lT1_lli.has_recursion, 0
	.set _ZL26rocblas_hscal_mlt_4_kernelILi256EPKDF16_PKPDF16_EviiiT0_lT1_lli.has_indirect_call, 0
	.section	.AMDGPU.csdata,"",@progbits
; Kernel info:
; codeLenInByte = 520
; TotalNumSgprs: 20
; NumVgprs: 7
; ScratchSize: 0
; MemoryBound: 0
; FloatMode: 240
; IeeeMode: 1
; LDSByteSize: 0 bytes/workgroup (compile time only)
; SGPRBlocks: 2
; VGPRBlocks: 1
; NumSGPRsForWavesPerEU: 20
; NumVGPRsForWavesPerEU: 7
; Occupancy: 10
; WaveLimiterHint : 1
; COMPUTE_PGM_RSRC2:SCRATCH_EN: 0
; COMPUTE_PGM_RSRC2:USER_SGPR: 6
; COMPUTE_PGM_RSRC2:TRAP_HANDLER: 0
; COMPUTE_PGM_RSRC2:TGID_X_EN: 1
; COMPUTE_PGM_RSRC2:TGID_Y_EN: 0
; COMPUTE_PGM_RSRC2:TGID_Z_EN: 1
; COMPUTE_PGM_RSRC2:TIDIG_COMP_CNT: 0
	.section	.text._ZL26rocblas_hscal_mlt_4_kernelILi256EDF16_PKPDF16_EviiiT0_lT1_lli,"axG",@progbits,_ZL26rocblas_hscal_mlt_4_kernelILi256EDF16_PKPDF16_EviiiT0_lT1_lli,comdat
	.globl	_ZL26rocblas_hscal_mlt_4_kernelILi256EDF16_PKPDF16_EviiiT0_lT1_lli ; -- Begin function _ZL26rocblas_hscal_mlt_4_kernelILi256EDF16_PKPDF16_EviiiT0_lT1_lli
	.p2align	8
	.type	_ZL26rocblas_hscal_mlt_4_kernelILi256EDF16_PKPDF16_EviiiT0_lT1_lli,@function
_ZL26rocblas_hscal_mlt_4_kernelILi256EDF16_PKPDF16_EviiiT0_lT1_lli: ; @_ZL26rocblas_hscal_mlt_4_kernelILi256EDF16_PKPDF16_EviiiT0_lT1_lli
; %bb.0:
	s_load_dwordx4 s[0:3], s[4:5], 0x0
	s_waitcnt lgkmcnt(0)
	v_cmp_eq_f16_e64 s[8:9], s3, 1.0
	s_and_b64 vcc, exec, s[8:9]
	s_cbranch_vccnz .LBB41_12
; %bb.1:
	s_load_dwordx4 s[8:11], s[4:5], 0x18
	v_lshlrev_b32_e32 v0, 2, v0
	v_lshl_or_b32 v0, s6, 10, v0
	v_or_b32_e32 v1, 3, v0
	s_mov_b32 s12, s7
	v_cmp_gt_u32_e32 vcc, s0, v1
	s_and_saveexec_b64 s[4:5], vcc
	s_cbranch_execz .LBB41_3
; %bb.2:
	s_mov_b32 s13, 0
	s_lshl_b64 s[6:7], s[12:13], 3
	s_waitcnt lgkmcnt(0)
	s_add_u32 s6, s8, s6
	s_addc_u32 s7, s9, s7
	s_load_dwordx2 s[6:7], s[6:7], 0x0
	v_mov_b32_e32 v1, 0
	s_lshl_b64 s[14:15], s[10:11], 1
	v_lshlrev_b64 v[1:2], 1, v[0:1]
	s_waitcnt lgkmcnt(0)
	s_add_u32 s0, s6, s14
	s_addc_u32 s6, s7, s15
	v_mov_b32_e32 v3, s6
	v_add_co_u32_e32 v1, vcc, s0, v1
	v_addc_co_u32_e32 v2, vcc, v3, v2, vcc
	flat_load_dwordx2 v[3:4], v[1:2]
	s_waitcnt vmcnt(0) lgkmcnt(0)
	v_pk_mul_f16 v4, s3, v4 op_sel_hi:[0,1]
	v_pk_mul_f16 v3, s3, v3 op_sel_hi:[0,1]
	flat_store_dwordx2 v[1:2], v[3:4]
.LBB41_3:
	s_or_b64 exec, exec, s[4:5]
	s_cmp_lg_u32 s1, 0
	s_cselect_b64 s[4:5], -1, 0
	v_cmp_eq_u32_e32 vcc, s2, v0
	s_and_b64 s[4:5], s[4:5], vcc
	s_and_saveexec_b64 s[6:7], s[4:5]
	s_cbranch_execz .LBB41_12
; %bb.4:
	s_cmp_lt_i32 s1, 1
	s_cbranch_scc1 .LBB41_12
; %bb.5:
	s_mov_b32 s13, 0
	s_lshl_b64 s[4:5], s[12:13], 3
	s_waitcnt lgkmcnt(0)
	s_add_u32 s4, s8, s4
	s_addc_u32 s5, s9, s5
	s_load_dwordx2 s[4:5], s[4:5], 0x0
	s_lshl_b64 s[6:7], s[10:11], 1
	s_waitcnt lgkmcnt(0)
	s_add_u32 s6, s4, s6
	s_addc_u32 s7, s5, s7
	s_cmp_lt_u32 s1, 4
	s_cselect_b64 s[4:5], -1, 0
	s_sub_i32 s0, 0, s1
	s_cmp_gt_u32 s2, s0
	s_cselect_b64 s[8:9], -1, 0
	s_or_b64 s[8:9], s[4:5], s[8:9]
	s_mov_b64 s[4:5], -1
	s_and_b64 vcc, exec, s[8:9]
	s_cbranch_vccnz .LBB41_9
; %bb.6:
	s_and_b32 s13, s1, 0x7ffffffe
	s_pack_ll_b32_b16 s0, s3, s3
	s_mov_b32 s5, 0
	s_mov_b32 s4, s2
	;; [unrolled: 1-line block ×3, first 2 shown]
.LBB41_7:                               ; =>This Inner Loop Header: Depth=1
	s_lshl_b64 s[10:11], s[4:5], 1
	s_add_u32 s10, s6, s10
	s_addc_u32 s11, s7, s11
	v_mov_b32_e32 v0, s10
	v_mov_b32_e32 v1, s11
	flat_load_dword v2, v[0:1]
	s_add_i32 s8, s8, -2
	s_add_i32 s4, s4, 2
	s_cmp_lg_u32 s8, 0
	s_waitcnt vmcnt(0) lgkmcnt(0)
	v_pk_mul_f16 v2, s0, v2
	flat_store_dword v[0:1], v2
	s_cbranch_scc1 .LBB41_7
; %bb.8:
	s_cmp_lg_u32 s1, s13
	s_cselect_b64 s[4:5], -1, 0
.LBB41_9:
	s_and_b64 vcc, exec, s[4:5]
	s_cbranch_vccz .LBB41_12
; %bb.10:
	s_sub_i32 s4, s1, s13
	s_add_i32 s0, s13, s2
	s_mov_b32 s1, 0
.LBB41_11:                              ; =>This Inner Loop Header: Depth=1
	s_lshl_b64 s[8:9], s[0:1], 1
	s_add_u32 s8, s6, s8
	s_addc_u32 s9, s7, s9
	v_mov_b32_e32 v0, s8
	v_mov_b32_e32 v1, s9
	flat_load_ushort v2, v[0:1]
	s_add_i32 s4, s4, -1
	s_add_i32 s0, s0, 1
	s_cmp_lg_u32 s4, 0
	s_waitcnt vmcnt(0) lgkmcnt(0)
	v_mul_f16_e32 v2, s3, v2
	flat_store_short v[0:1], v2
	s_cbranch_scc1 .LBB41_11
.LBB41_12:
	s_endpgm
	.section	.rodata,"a",@progbits
	.p2align	6, 0x0
	.amdhsa_kernel _ZL26rocblas_hscal_mlt_4_kernelILi256EDF16_PKPDF16_EviiiT0_lT1_lli
		.amdhsa_group_segment_fixed_size 0
		.amdhsa_private_segment_fixed_size 0
		.amdhsa_kernarg_size 52
		.amdhsa_user_sgpr_count 6
		.amdhsa_user_sgpr_private_segment_buffer 1
		.amdhsa_user_sgpr_dispatch_ptr 0
		.amdhsa_user_sgpr_queue_ptr 0
		.amdhsa_user_sgpr_kernarg_segment_ptr 1
		.amdhsa_user_sgpr_dispatch_id 0
		.amdhsa_user_sgpr_flat_scratch_init 0
		.amdhsa_user_sgpr_private_segment_size 0
		.amdhsa_uses_dynamic_stack 0
		.amdhsa_system_sgpr_private_segment_wavefront_offset 0
		.amdhsa_system_sgpr_workgroup_id_x 1
		.amdhsa_system_sgpr_workgroup_id_y 0
		.amdhsa_system_sgpr_workgroup_id_z 1
		.amdhsa_system_sgpr_workgroup_info 0
		.amdhsa_system_vgpr_workitem_id 0
		.amdhsa_next_free_vgpr 5
		.amdhsa_next_free_sgpr 16
		.amdhsa_reserve_vcc 1
		.amdhsa_reserve_flat_scratch 0
		.amdhsa_float_round_mode_32 0
		.amdhsa_float_round_mode_16_64 0
		.amdhsa_float_denorm_mode_32 3
		.amdhsa_float_denorm_mode_16_64 3
		.amdhsa_dx10_clamp 1
		.amdhsa_ieee_mode 1
		.amdhsa_fp16_overflow 0
		.amdhsa_exception_fp_ieee_invalid_op 0
		.amdhsa_exception_fp_denorm_src 0
		.amdhsa_exception_fp_ieee_div_zero 0
		.amdhsa_exception_fp_ieee_overflow 0
		.amdhsa_exception_fp_ieee_underflow 0
		.amdhsa_exception_fp_ieee_inexact 0
		.amdhsa_exception_int_div_zero 0
	.end_amdhsa_kernel
	.section	.text._ZL26rocblas_hscal_mlt_4_kernelILi256EDF16_PKPDF16_EviiiT0_lT1_lli,"axG",@progbits,_ZL26rocblas_hscal_mlt_4_kernelILi256EDF16_PKPDF16_EviiiT0_lT1_lli,comdat
.Lfunc_end41:
	.size	_ZL26rocblas_hscal_mlt_4_kernelILi256EDF16_PKPDF16_EviiiT0_lT1_lli, .Lfunc_end41-_ZL26rocblas_hscal_mlt_4_kernelILi256EDF16_PKPDF16_EviiiT0_lT1_lli
                                        ; -- End function
	.set _ZL26rocblas_hscal_mlt_4_kernelILi256EDF16_PKPDF16_EviiiT0_lT1_lli.num_vgpr, 5
	.set _ZL26rocblas_hscal_mlt_4_kernelILi256EDF16_PKPDF16_EviiiT0_lT1_lli.num_agpr, 0
	.set _ZL26rocblas_hscal_mlt_4_kernelILi256EDF16_PKPDF16_EviiiT0_lT1_lli.numbered_sgpr, 16
	.set _ZL26rocblas_hscal_mlt_4_kernelILi256EDF16_PKPDF16_EviiiT0_lT1_lli.num_named_barrier, 0
	.set _ZL26rocblas_hscal_mlt_4_kernelILi256EDF16_PKPDF16_EviiiT0_lT1_lli.private_seg_size, 0
	.set _ZL26rocblas_hscal_mlt_4_kernelILi256EDF16_PKPDF16_EviiiT0_lT1_lli.uses_vcc, 1
	.set _ZL26rocblas_hscal_mlt_4_kernelILi256EDF16_PKPDF16_EviiiT0_lT1_lli.uses_flat_scratch, 0
	.set _ZL26rocblas_hscal_mlt_4_kernelILi256EDF16_PKPDF16_EviiiT0_lT1_lli.has_dyn_sized_stack, 0
	.set _ZL26rocblas_hscal_mlt_4_kernelILi256EDF16_PKPDF16_EviiiT0_lT1_lli.has_recursion, 0
	.set _ZL26rocblas_hscal_mlt_4_kernelILi256EDF16_PKPDF16_EviiiT0_lT1_lli.has_indirect_call, 0
	.section	.AMDGPU.csdata,"",@progbits
; Kernel info:
; codeLenInByte = 468
; TotalNumSgprs: 20
; NumVgprs: 5
; ScratchSize: 0
; MemoryBound: 0
; FloatMode: 240
; IeeeMode: 1
; LDSByteSize: 0 bytes/workgroup (compile time only)
; SGPRBlocks: 2
; VGPRBlocks: 1
; NumSGPRsForWavesPerEU: 20
; NumVGPRsForWavesPerEU: 5
; Occupancy: 10
; WaveLimiterHint : 1
; COMPUTE_PGM_RSRC2:SCRATCH_EN: 0
; COMPUTE_PGM_RSRC2:USER_SGPR: 6
; COMPUTE_PGM_RSRC2:TRAP_HANDLER: 0
; COMPUTE_PGM_RSRC2:TGID_X_EN: 1
; COMPUTE_PGM_RSRC2:TGID_Y_EN: 0
; COMPUTE_PGM_RSRC2:TGID_Z_EN: 1
; COMPUTE_PGM_RSRC2:TIDIG_COMP_CNT: 0
	.section	.text._ZL19rocblas_scal_kernelIiLi256EDF16_DF16_PKDF16_PKPDF16_EviT3_lT4_lT_li,"axG",@progbits,_ZL19rocblas_scal_kernelIiLi256EDF16_DF16_PKDF16_PKPDF16_EviT3_lT4_lT_li,comdat
	.globl	_ZL19rocblas_scal_kernelIiLi256EDF16_DF16_PKDF16_PKPDF16_EviT3_lT4_lT_li ; -- Begin function _ZL19rocblas_scal_kernelIiLi256EDF16_DF16_PKDF16_PKPDF16_EviT3_lT4_lT_li
	.p2align	8
	.type	_ZL19rocblas_scal_kernelIiLi256EDF16_DF16_PKDF16_PKPDF16_EviT3_lT4_lT_li,@function
_ZL19rocblas_scal_kernelIiLi256EDF16_DF16_PKDF16_PKPDF16_EviT3_lT4_lT_li: ; @_ZL19rocblas_scal_kernelIiLi256EDF16_DF16_PKDF16_PKPDF16_EviT3_lT4_lT_li
; %bb.0:
	s_load_dwordx8 s[8:15], s[4:5], 0x8
	v_mov_b32_e32 v1, 0
	v_lshl_or_b32 v0, s6, 8, v0
	s_mov_b32 s2, s7
	s_waitcnt lgkmcnt(0)
	s_mul_i32 s0, s11, s7
	s_mul_hi_u32 s1, s10, s7
	s_add_i32 s1, s1, s0
	s_mul_i32 s0, s10, s7
	s_lshl_b64 s[0:1], s[0:1], 1
	s_add_u32 s0, s8, s0
	s_addc_u32 s1, s9, s1
	global_load_ushort v1, v1, s[0:1]
	s_load_dword s0, s[4:5], 0x0
	s_waitcnt lgkmcnt(0)
	v_cmp_gt_u32_e64 s[0:1], s0, v0
	s_waitcnt vmcnt(0)
	v_cmp_neq_f16_e32 vcc, 1.0, v1
	s_and_b64 s[0:1], s[0:1], vcc
	s_and_saveexec_b64 s[6:7], s[0:1]
	s_cbranch_execz .LBB42_2
; %bb.1:
	s_load_dword s4, s[4:5], 0x28
	s_mov_b32 s3, 0
	s_lshl_b64 s[0:1], s[2:3], 3
	s_waitcnt lgkmcnt(0)
	s_ashr_i32 s5, s4, 31
	v_mad_u64_u32 v[2:3], s[2:3], s4, v0, 0
	s_add_u32 s0, s12, s0
	s_addc_u32 s1, s13, s1
	s_load_dwordx2 s[0:1], s[0:1], 0x0
	v_mad_u64_u32 v[3:4], s[2:3], s5, v0, v[3:4]
	s_lshl_b64 s[2:3], s[14:15], 1
	s_waitcnt lgkmcnt(0)
	s_add_u32 s0, s0, s2
	v_lshlrev_b64 v[2:3], 1, v[2:3]
	s_addc_u32 s1, s1, s3
	v_mov_b32_e32 v0, s1
	v_add_co_u32_e32 v2, vcc, s0, v2
	v_addc_co_u32_e32 v3, vcc, v0, v3, vcc
	flat_load_ushort v0, v[2:3]
	s_waitcnt vmcnt(0) lgkmcnt(0)
	v_mul_f16_e32 v0, v1, v0
	flat_store_short v[2:3], v0
.LBB42_2:
	s_endpgm
	.section	.rodata,"a",@progbits
	.p2align	6, 0x0
	.amdhsa_kernel _ZL19rocblas_scal_kernelIiLi256EDF16_DF16_PKDF16_PKPDF16_EviT3_lT4_lT_li
		.amdhsa_group_segment_fixed_size 0
		.amdhsa_private_segment_fixed_size 0
		.amdhsa_kernarg_size 60
		.amdhsa_user_sgpr_count 6
		.amdhsa_user_sgpr_private_segment_buffer 1
		.amdhsa_user_sgpr_dispatch_ptr 0
		.amdhsa_user_sgpr_queue_ptr 0
		.amdhsa_user_sgpr_kernarg_segment_ptr 1
		.amdhsa_user_sgpr_dispatch_id 0
		.amdhsa_user_sgpr_flat_scratch_init 0
		.amdhsa_user_sgpr_private_segment_size 0
		.amdhsa_uses_dynamic_stack 0
		.amdhsa_system_sgpr_private_segment_wavefront_offset 0
		.amdhsa_system_sgpr_workgroup_id_x 1
		.amdhsa_system_sgpr_workgroup_id_y 0
		.amdhsa_system_sgpr_workgroup_id_z 1
		.amdhsa_system_sgpr_workgroup_info 0
		.amdhsa_system_vgpr_workitem_id 0
		.amdhsa_next_free_vgpr 5
		.amdhsa_next_free_sgpr 16
		.amdhsa_reserve_vcc 1
		.amdhsa_reserve_flat_scratch 0
		.amdhsa_float_round_mode_32 0
		.amdhsa_float_round_mode_16_64 0
		.amdhsa_float_denorm_mode_32 3
		.amdhsa_float_denorm_mode_16_64 3
		.amdhsa_dx10_clamp 1
		.amdhsa_ieee_mode 1
		.amdhsa_fp16_overflow 0
		.amdhsa_exception_fp_ieee_invalid_op 0
		.amdhsa_exception_fp_denorm_src 0
		.amdhsa_exception_fp_ieee_div_zero 0
		.amdhsa_exception_fp_ieee_overflow 0
		.amdhsa_exception_fp_ieee_underflow 0
		.amdhsa_exception_fp_ieee_inexact 0
		.amdhsa_exception_int_div_zero 0
	.end_amdhsa_kernel
	.section	.text._ZL19rocblas_scal_kernelIiLi256EDF16_DF16_PKDF16_PKPDF16_EviT3_lT4_lT_li,"axG",@progbits,_ZL19rocblas_scal_kernelIiLi256EDF16_DF16_PKDF16_PKPDF16_EviT3_lT4_lT_li,comdat
.Lfunc_end42:
	.size	_ZL19rocblas_scal_kernelIiLi256EDF16_DF16_PKDF16_PKPDF16_EviT3_lT4_lT_li, .Lfunc_end42-_ZL19rocblas_scal_kernelIiLi256EDF16_DF16_PKDF16_PKPDF16_EviT3_lT4_lT_li
                                        ; -- End function
	.set _ZL19rocblas_scal_kernelIiLi256EDF16_DF16_PKDF16_PKPDF16_EviT3_lT4_lT_li.num_vgpr, 5
	.set _ZL19rocblas_scal_kernelIiLi256EDF16_DF16_PKDF16_PKPDF16_EviT3_lT4_lT_li.num_agpr, 0
	.set _ZL19rocblas_scal_kernelIiLi256EDF16_DF16_PKDF16_PKPDF16_EviT3_lT4_lT_li.numbered_sgpr, 16
	.set _ZL19rocblas_scal_kernelIiLi256EDF16_DF16_PKDF16_PKPDF16_EviT3_lT4_lT_li.num_named_barrier, 0
	.set _ZL19rocblas_scal_kernelIiLi256EDF16_DF16_PKDF16_PKPDF16_EviT3_lT4_lT_li.private_seg_size, 0
	.set _ZL19rocblas_scal_kernelIiLi256EDF16_DF16_PKDF16_PKPDF16_EviT3_lT4_lT_li.uses_vcc, 1
	.set _ZL19rocblas_scal_kernelIiLi256EDF16_DF16_PKDF16_PKPDF16_EviT3_lT4_lT_li.uses_flat_scratch, 0
	.set _ZL19rocblas_scal_kernelIiLi256EDF16_DF16_PKDF16_PKPDF16_EviT3_lT4_lT_li.has_dyn_sized_stack, 0
	.set _ZL19rocblas_scal_kernelIiLi256EDF16_DF16_PKDF16_PKPDF16_EviT3_lT4_lT_li.has_recursion, 0
	.set _ZL19rocblas_scal_kernelIiLi256EDF16_DF16_PKDF16_PKPDF16_EviT3_lT4_lT_li.has_indirect_call, 0
	.section	.AMDGPU.csdata,"",@progbits
; Kernel info:
; codeLenInByte = 224
; TotalNumSgprs: 20
; NumVgprs: 5
; ScratchSize: 0
; MemoryBound: 0
; FloatMode: 240
; IeeeMode: 1
; LDSByteSize: 0 bytes/workgroup (compile time only)
; SGPRBlocks: 2
; VGPRBlocks: 1
; NumSGPRsForWavesPerEU: 20
; NumVGPRsForWavesPerEU: 5
; Occupancy: 10
; WaveLimiterHint : 1
; COMPUTE_PGM_RSRC2:SCRATCH_EN: 0
; COMPUTE_PGM_RSRC2:USER_SGPR: 6
; COMPUTE_PGM_RSRC2:TRAP_HANDLER: 0
; COMPUTE_PGM_RSRC2:TGID_X_EN: 1
; COMPUTE_PGM_RSRC2:TGID_Y_EN: 0
; COMPUTE_PGM_RSRC2:TGID_Z_EN: 1
; COMPUTE_PGM_RSRC2:TIDIG_COMP_CNT: 0
	.section	.text._ZL19rocblas_scal_kernelIiLi256EDF16_DF16_DF16_PKPDF16_EviT3_lT4_lT_li,"axG",@progbits,_ZL19rocblas_scal_kernelIiLi256EDF16_DF16_DF16_PKPDF16_EviT3_lT4_lT_li,comdat
	.globl	_ZL19rocblas_scal_kernelIiLi256EDF16_DF16_DF16_PKPDF16_EviT3_lT4_lT_li ; -- Begin function _ZL19rocblas_scal_kernelIiLi256EDF16_DF16_DF16_PKPDF16_EviT3_lT4_lT_li
	.p2align	8
	.type	_ZL19rocblas_scal_kernelIiLi256EDF16_DF16_DF16_PKPDF16_EviT3_lT4_lT_li,@function
_ZL19rocblas_scal_kernelIiLi256EDF16_DF16_DF16_PKPDF16_EviT3_lT4_lT_li: ; @_ZL19rocblas_scal_kernelIiLi256EDF16_DF16_DF16_PKPDF16_EviT3_lT4_lT_li
; %bb.0:
	s_load_dwordx2 s[0:1], s[4:5], 0x0
	v_lshl_or_b32 v0, s6, 8, v0
	s_mov_b32 s2, s7
	s_waitcnt lgkmcnt(0)
	v_cmp_neq_f16_e64 s[6:7], s1, 1.0
	v_cmp_gt_u32_e32 vcc, s0, v0
	s_and_b64 s[6:7], vcc, s[6:7]
	s_and_saveexec_b64 s[8:9], s[6:7]
	s_cbranch_execz .LBB43_2
; %bb.1:
	s_load_dword s0, s[4:5], 0x20
	s_load_dwordx4 s[8:11], s[4:5], 0x10
	s_mov_b32 s3, 0
	s_lshl_b64 s[2:3], s[2:3], 3
	s_waitcnt lgkmcnt(0)
	s_ashr_i32 s6, s0, 31
	v_mad_u64_u32 v[1:2], s[4:5], s0, v0, 0
	s_add_u32 s2, s8, s2
	s_addc_u32 s3, s9, s3
	s_load_dwordx2 s[2:3], s[2:3], 0x0
	v_mad_u64_u32 v[2:3], s[4:5], s6, v0, v[2:3]
	s_lshl_b64 s[4:5], s[10:11], 1
	s_waitcnt lgkmcnt(0)
	s_add_u32 s0, s2, s4
	v_lshlrev_b64 v[0:1], 1, v[1:2]
	s_addc_u32 s2, s3, s5
	v_mov_b32_e32 v2, s2
	v_add_co_u32_e32 v0, vcc, s0, v0
	v_addc_co_u32_e32 v1, vcc, v2, v1, vcc
	flat_load_ushort v2, v[0:1]
	s_waitcnt vmcnt(0) lgkmcnt(0)
	v_mul_f16_e32 v2, s1, v2
	flat_store_short v[0:1], v2
.LBB43_2:
	s_endpgm
	.section	.rodata,"a",@progbits
	.p2align	6, 0x0
	.amdhsa_kernel _ZL19rocblas_scal_kernelIiLi256EDF16_DF16_DF16_PKPDF16_EviT3_lT4_lT_li
		.amdhsa_group_segment_fixed_size 0
		.amdhsa_private_segment_fixed_size 0
		.amdhsa_kernarg_size 52
		.amdhsa_user_sgpr_count 6
		.amdhsa_user_sgpr_private_segment_buffer 1
		.amdhsa_user_sgpr_dispatch_ptr 0
		.amdhsa_user_sgpr_queue_ptr 0
		.amdhsa_user_sgpr_kernarg_segment_ptr 1
		.amdhsa_user_sgpr_dispatch_id 0
		.amdhsa_user_sgpr_flat_scratch_init 0
		.amdhsa_user_sgpr_private_segment_size 0
		.amdhsa_uses_dynamic_stack 0
		.amdhsa_system_sgpr_private_segment_wavefront_offset 0
		.amdhsa_system_sgpr_workgroup_id_x 1
		.amdhsa_system_sgpr_workgroup_id_y 0
		.amdhsa_system_sgpr_workgroup_id_z 1
		.amdhsa_system_sgpr_workgroup_info 0
		.amdhsa_system_vgpr_workitem_id 0
		.amdhsa_next_free_vgpr 4
		.amdhsa_next_free_sgpr 12
		.amdhsa_reserve_vcc 1
		.amdhsa_reserve_flat_scratch 0
		.amdhsa_float_round_mode_32 0
		.amdhsa_float_round_mode_16_64 0
		.amdhsa_float_denorm_mode_32 3
		.amdhsa_float_denorm_mode_16_64 3
		.amdhsa_dx10_clamp 1
		.amdhsa_ieee_mode 1
		.amdhsa_fp16_overflow 0
		.amdhsa_exception_fp_ieee_invalid_op 0
		.amdhsa_exception_fp_denorm_src 0
		.amdhsa_exception_fp_ieee_div_zero 0
		.amdhsa_exception_fp_ieee_overflow 0
		.amdhsa_exception_fp_ieee_underflow 0
		.amdhsa_exception_fp_ieee_inexact 0
		.amdhsa_exception_int_div_zero 0
	.end_amdhsa_kernel
	.section	.text._ZL19rocblas_scal_kernelIiLi256EDF16_DF16_DF16_PKPDF16_EviT3_lT4_lT_li,"axG",@progbits,_ZL19rocblas_scal_kernelIiLi256EDF16_DF16_DF16_PKPDF16_EviT3_lT4_lT_li,comdat
.Lfunc_end43:
	.size	_ZL19rocblas_scal_kernelIiLi256EDF16_DF16_DF16_PKPDF16_EviT3_lT4_lT_li, .Lfunc_end43-_ZL19rocblas_scal_kernelIiLi256EDF16_DF16_DF16_PKPDF16_EviT3_lT4_lT_li
                                        ; -- End function
	.set _ZL19rocblas_scal_kernelIiLi256EDF16_DF16_DF16_PKPDF16_EviT3_lT4_lT_li.num_vgpr, 4
	.set _ZL19rocblas_scal_kernelIiLi256EDF16_DF16_DF16_PKPDF16_EviT3_lT4_lT_li.num_agpr, 0
	.set _ZL19rocblas_scal_kernelIiLi256EDF16_DF16_DF16_PKPDF16_EviT3_lT4_lT_li.numbered_sgpr, 12
	.set _ZL19rocblas_scal_kernelIiLi256EDF16_DF16_DF16_PKPDF16_EviT3_lT4_lT_li.num_named_barrier, 0
	.set _ZL19rocblas_scal_kernelIiLi256EDF16_DF16_DF16_PKPDF16_EviT3_lT4_lT_li.private_seg_size, 0
	.set _ZL19rocblas_scal_kernelIiLi256EDF16_DF16_DF16_PKPDF16_EviT3_lT4_lT_li.uses_vcc, 1
	.set _ZL19rocblas_scal_kernelIiLi256EDF16_DF16_DF16_PKPDF16_EviT3_lT4_lT_li.uses_flat_scratch, 0
	.set _ZL19rocblas_scal_kernelIiLi256EDF16_DF16_DF16_PKPDF16_EviT3_lT4_lT_li.has_dyn_sized_stack, 0
	.set _ZL19rocblas_scal_kernelIiLi256EDF16_DF16_DF16_PKPDF16_EviT3_lT4_lT_li.has_recursion, 0
	.set _ZL19rocblas_scal_kernelIiLi256EDF16_DF16_DF16_PKPDF16_EviT3_lT4_lT_li.has_indirect_call, 0
	.section	.AMDGPU.csdata,"",@progbits
; Kernel info:
; codeLenInByte = 176
; TotalNumSgprs: 16
; NumVgprs: 4
; ScratchSize: 0
; MemoryBound: 0
; FloatMode: 240
; IeeeMode: 1
; LDSByteSize: 0 bytes/workgroup (compile time only)
; SGPRBlocks: 1
; VGPRBlocks: 0
; NumSGPRsForWavesPerEU: 16
; NumVGPRsForWavesPerEU: 4
; Occupancy: 10
; WaveLimiterHint : 1
; COMPUTE_PGM_RSRC2:SCRATCH_EN: 0
; COMPUTE_PGM_RSRC2:USER_SGPR: 6
; COMPUTE_PGM_RSRC2:TRAP_HANDLER: 0
; COMPUTE_PGM_RSRC2:TGID_X_EN: 1
; COMPUTE_PGM_RSRC2:TGID_Y_EN: 0
; COMPUTE_PGM_RSRC2:TGID_Z_EN: 1
; COMPUTE_PGM_RSRC2:TIDIG_COMP_CNT: 0
	.section	.text._ZL19rocblas_scal_kernelIlLi256EDF16_DF16_PKDF16_PKPDF16_EviT3_lT4_lT_li,"axG",@progbits,_ZL19rocblas_scal_kernelIlLi256EDF16_DF16_PKDF16_PKPDF16_EviT3_lT4_lT_li,comdat
	.globl	_ZL19rocblas_scal_kernelIlLi256EDF16_DF16_PKDF16_PKPDF16_EviT3_lT4_lT_li ; -- Begin function _ZL19rocblas_scal_kernelIlLi256EDF16_DF16_PKDF16_PKPDF16_EviT3_lT4_lT_li
	.p2align	8
	.type	_ZL19rocblas_scal_kernelIlLi256EDF16_DF16_PKDF16_PKPDF16_EviT3_lT4_lT_li,@function
_ZL19rocblas_scal_kernelIlLi256EDF16_DF16_PKDF16_PKPDF16_EviT3_lT4_lT_li: ; @_ZL19rocblas_scal_kernelIlLi256EDF16_DF16_PKDF16_PKPDF16_EviT3_lT4_lT_li
; %bb.0:
	s_load_dwordx8 s[8:15], s[4:5], 0x8
	v_mov_b32_e32 v1, 0
	v_lshl_or_b32 v0, s6, 8, v0
	s_mov_b32 s2, s7
	s_waitcnt lgkmcnt(0)
	s_mul_i32 s0, s11, s7
	s_mul_hi_u32 s1, s10, s7
	s_add_i32 s1, s1, s0
	s_mul_i32 s0, s10, s7
	s_lshl_b64 s[0:1], s[0:1], 1
	s_add_u32 s0, s8, s0
	s_addc_u32 s1, s9, s1
	global_load_ushort v1, v1, s[0:1]
	s_load_dword s0, s[4:5], 0x0
	s_waitcnt lgkmcnt(0)
	v_cmp_gt_u32_e64 s[0:1], s0, v0
	s_waitcnt vmcnt(0)
	v_cmp_neq_f16_e32 vcc, 1.0, v1
	s_and_b64 s[0:1], s[0:1], vcc
	s_and_saveexec_b64 s[6:7], s[0:1]
	s_cbranch_execz .LBB44_2
; %bb.1:
	s_load_dwordx2 s[0:1], s[4:5], 0x28
	s_mov_b32 s3, 0
	s_lshl_b64 s[2:3], s[2:3], 3
	s_add_u32 s2, s12, s2
	s_addc_u32 s3, s13, s3
	s_waitcnt lgkmcnt(0)
	v_mad_u64_u32 v[2:3], s[4:5], s0, v0, 0
	s_load_dwordx2 s[2:3], s[2:3], 0x0
	v_mad_u64_u32 v[3:4], s[0:1], s1, v0, v[3:4]
	s_lshl_b64 s[0:1], s[14:15], 1
	s_waitcnt lgkmcnt(0)
	s_add_u32 s0, s2, s0
	v_lshlrev_b64 v[2:3], 1, v[2:3]
	s_addc_u32 s1, s3, s1
	v_mov_b32_e32 v0, s1
	v_add_co_u32_e32 v2, vcc, s0, v2
	v_addc_co_u32_e32 v3, vcc, v0, v3, vcc
	flat_load_ushort v0, v[2:3]
	s_waitcnt vmcnt(0) lgkmcnt(0)
	v_mul_f16_e32 v0, v1, v0
	flat_store_short v[2:3], v0
.LBB44_2:
	s_endpgm
	.section	.rodata,"a",@progbits
	.p2align	6, 0x0
	.amdhsa_kernel _ZL19rocblas_scal_kernelIlLi256EDF16_DF16_PKDF16_PKPDF16_EviT3_lT4_lT_li
		.amdhsa_group_segment_fixed_size 0
		.amdhsa_private_segment_fixed_size 0
		.amdhsa_kernarg_size 60
		.amdhsa_user_sgpr_count 6
		.amdhsa_user_sgpr_private_segment_buffer 1
		.amdhsa_user_sgpr_dispatch_ptr 0
		.amdhsa_user_sgpr_queue_ptr 0
		.amdhsa_user_sgpr_kernarg_segment_ptr 1
		.amdhsa_user_sgpr_dispatch_id 0
		.amdhsa_user_sgpr_flat_scratch_init 0
		.amdhsa_user_sgpr_private_segment_size 0
		.amdhsa_uses_dynamic_stack 0
		.amdhsa_system_sgpr_private_segment_wavefront_offset 0
		.amdhsa_system_sgpr_workgroup_id_x 1
		.amdhsa_system_sgpr_workgroup_id_y 0
		.amdhsa_system_sgpr_workgroup_id_z 1
		.amdhsa_system_sgpr_workgroup_info 0
		.amdhsa_system_vgpr_workitem_id 0
		.amdhsa_next_free_vgpr 5
		.amdhsa_next_free_sgpr 16
		.amdhsa_reserve_vcc 1
		.amdhsa_reserve_flat_scratch 0
		.amdhsa_float_round_mode_32 0
		.amdhsa_float_round_mode_16_64 0
		.amdhsa_float_denorm_mode_32 3
		.amdhsa_float_denorm_mode_16_64 3
		.amdhsa_dx10_clamp 1
		.amdhsa_ieee_mode 1
		.amdhsa_fp16_overflow 0
		.amdhsa_exception_fp_ieee_invalid_op 0
		.amdhsa_exception_fp_denorm_src 0
		.amdhsa_exception_fp_ieee_div_zero 0
		.amdhsa_exception_fp_ieee_overflow 0
		.amdhsa_exception_fp_ieee_underflow 0
		.amdhsa_exception_fp_ieee_inexact 0
		.amdhsa_exception_int_div_zero 0
	.end_amdhsa_kernel
	.section	.text._ZL19rocblas_scal_kernelIlLi256EDF16_DF16_PKDF16_PKPDF16_EviT3_lT4_lT_li,"axG",@progbits,_ZL19rocblas_scal_kernelIlLi256EDF16_DF16_PKDF16_PKPDF16_EviT3_lT4_lT_li,comdat
.Lfunc_end44:
	.size	_ZL19rocblas_scal_kernelIlLi256EDF16_DF16_PKDF16_PKPDF16_EviT3_lT4_lT_li, .Lfunc_end44-_ZL19rocblas_scal_kernelIlLi256EDF16_DF16_PKDF16_PKPDF16_EviT3_lT4_lT_li
                                        ; -- End function
	.set _ZL19rocblas_scal_kernelIlLi256EDF16_DF16_PKDF16_PKPDF16_EviT3_lT4_lT_li.num_vgpr, 5
	.set _ZL19rocblas_scal_kernelIlLi256EDF16_DF16_PKDF16_PKPDF16_EviT3_lT4_lT_li.num_agpr, 0
	.set _ZL19rocblas_scal_kernelIlLi256EDF16_DF16_PKDF16_PKPDF16_EviT3_lT4_lT_li.numbered_sgpr, 16
	.set _ZL19rocblas_scal_kernelIlLi256EDF16_DF16_PKDF16_PKPDF16_EviT3_lT4_lT_li.num_named_barrier, 0
	.set _ZL19rocblas_scal_kernelIlLi256EDF16_DF16_PKDF16_PKPDF16_EviT3_lT4_lT_li.private_seg_size, 0
	.set _ZL19rocblas_scal_kernelIlLi256EDF16_DF16_PKDF16_PKPDF16_EviT3_lT4_lT_li.uses_vcc, 1
	.set _ZL19rocblas_scal_kernelIlLi256EDF16_DF16_PKDF16_PKPDF16_EviT3_lT4_lT_li.uses_flat_scratch, 0
	.set _ZL19rocblas_scal_kernelIlLi256EDF16_DF16_PKDF16_PKPDF16_EviT3_lT4_lT_li.has_dyn_sized_stack, 0
	.set _ZL19rocblas_scal_kernelIlLi256EDF16_DF16_PKDF16_PKPDF16_EviT3_lT4_lT_li.has_recursion, 0
	.set _ZL19rocblas_scal_kernelIlLi256EDF16_DF16_PKDF16_PKPDF16_EviT3_lT4_lT_li.has_indirect_call, 0
	.section	.AMDGPU.csdata,"",@progbits
; Kernel info:
; codeLenInByte = 220
; TotalNumSgprs: 20
; NumVgprs: 5
; ScratchSize: 0
; MemoryBound: 0
; FloatMode: 240
; IeeeMode: 1
; LDSByteSize: 0 bytes/workgroup (compile time only)
; SGPRBlocks: 2
; VGPRBlocks: 1
; NumSGPRsForWavesPerEU: 20
; NumVGPRsForWavesPerEU: 5
; Occupancy: 10
; WaveLimiterHint : 1
; COMPUTE_PGM_RSRC2:SCRATCH_EN: 0
; COMPUTE_PGM_RSRC2:USER_SGPR: 6
; COMPUTE_PGM_RSRC2:TRAP_HANDLER: 0
; COMPUTE_PGM_RSRC2:TGID_X_EN: 1
; COMPUTE_PGM_RSRC2:TGID_Y_EN: 0
; COMPUTE_PGM_RSRC2:TGID_Z_EN: 1
; COMPUTE_PGM_RSRC2:TIDIG_COMP_CNT: 0
	.section	.text._ZL19rocblas_scal_kernelIlLi256EDF16_DF16_DF16_PKPDF16_EviT3_lT4_lT_li,"axG",@progbits,_ZL19rocblas_scal_kernelIlLi256EDF16_DF16_DF16_PKPDF16_EviT3_lT4_lT_li,comdat
	.globl	_ZL19rocblas_scal_kernelIlLi256EDF16_DF16_DF16_PKPDF16_EviT3_lT4_lT_li ; -- Begin function _ZL19rocblas_scal_kernelIlLi256EDF16_DF16_DF16_PKPDF16_EviT3_lT4_lT_li
	.p2align	8
	.type	_ZL19rocblas_scal_kernelIlLi256EDF16_DF16_DF16_PKPDF16_EviT3_lT4_lT_li,@function
_ZL19rocblas_scal_kernelIlLi256EDF16_DF16_DF16_PKPDF16_EviT3_lT4_lT_li: ; @_ZL19rocblas_scal_kernelIlLi256EDF16_DF16_DF16_PKPDF16_EviT3_lT4_lT_li
; %bb.0:
	s_load_dwordx2 s[0:1], s[4:5], 0x0
	v_lshl_or_b32 v0, s6, 8, v0
	s_mov_b32 s2, s7
	s_waitcnt lgkmcnt(0)
	v_cmp_neq_f16_e64 s[6:7], s1, 1.0
	v_cmp_gt_u32_e32 vcc, s0, v0
	s_and_b64 s[6:7], vcc, s[6:7]
	s_and_saveexec_b64 s[8:9], s[6:7]
	s_cbranch_execz .LBB45_2
; %bb.1:
	s_load_dwordx2 s[6:7], s[4:5], 0x20
	s_load_dwordx4 s[8:11], s[4:5], 0x10
	s_mov_b32 s3, 0
	s_lshl_b64 s[2:3], s[2:3], 3
	s_waitcnt lgkmcnt(0)
	v_mad_u64_u32 v[1:2], s[4:5], s6, v0, 0
	s_add_u32 s2, s8, s2
	s_addc_u32 s3, s9, s3
	s_load_dwordx2 s[2:3], s[2:3], 0x0
	v_mad_u64_u32 v[2:3], s[4:5], s7, v0, v[2:3]
	s_lshl_b64 s[4:5], s[10:11], 1
	s_waitcnt lgkmcnt(0)
	s_add_u32 s0, s2, s4
	v_lshlrev_b64 v[0:1], 1, v[1:2]
	s_addc_u32 s2, s3, s5
	v_mov_b32_e32 v2, s2
	v_add_co_u32_e32 v0, vcc, s0, v0
	v_addc_co_u32_e32 v1, vcc, v2, v1, vcc
	flat_load_ushort v2, v[0:1]
	s_waitcnt vmcnt(0) lgkmcnt(0)
	v_mul_f16_e32 v2, s1, v2
	flat_store_short v[0:1], v2
.LBB45_2:
	s_endpgm
	.section	.rodata,"a",@progbits
	.p2align	6, 0x0
	.amdhsa_kernel _ZL19rocblas_scal_kernelIlLi256EDF16_DF16_DF16_PKPDF16_EviT3_lT4_lT_li
		.amdhsa_group_segment_fixed_size 0
		.amdhsa_private_segment_fixed_size 0
		.amdhsa_kernarg_size 52
		.amdhsa_user_sgpr_count 6
		.amdhsa_user_sgpr_private_segment_buffer 1
		.amdhsa_user_sgpr_dispatch_ptr 0
		.amdhsa_user_sgpr_queue_ptr 0
		.amdhsa_user_sgpr_kernarg_segment_ptr 1
		.amdhsa_user_sgpr_dispatch_id 0
		.amdhsa_user_sgpr_flat_scratch_init 0
		.amdhsa_user_sgpr_private_segment_size 0
		.amdhsa_uses_dynamic_stack 0
		.amdhsa_system_sgpr_private_segment_wavefront_offset 0
		.amdhsa_system_sgpr_workgroup_id_x 1
		.amdhsa_system_sgpr_workgroup_id_y 0
		.amdhsa_system_sgpr_workgroup_id_z 1
		.amdhsa_system_sgpr_workgroup_info 0
		.amdhsa_system_vgpr_workitem_id 0
		.amdhsa_next_free_vgpr 4
		.amdhsa_next_free_sgpr 12
		.amdhsa_reserve_vcc 1
		.amdhsa_reserve_flat_scratch 0
		.amdhsa_float_round_mode_32 0
		.amdhsa_float_round_mode_16_64 0
		.amdhsa_float_denorm_mode_32 3
		.amdhsa_float_denorm_mode_16_64 3
		.amdhsa_dx10_clamp 1
		.amdhsa_ieee_mode 1
		.amdhsa_fp16_overflow 0
		.amdhsa_exception_fp_ieee_invalid_op 0
		.amdhsa_exception_fp_denorm_src 0
		.amdhsa_exception_fp_ieee_div_zero 0
		.amdhsa_exception_fp_ieee_overflow 0
		.amdhsa_exception_fp_ieee_underflow 0
		.amdhsa_exception_fp_ieee_inexact 0
		.amdhsa_exception_int_div_zero 0
	.end_amdhsa_kernel
	.section	.text._ZL19rocblas_scal_kernelIlLi256EDF16_DF16_DF16_PKPDF16_EviT3_lT4_lT_li,"axG",@progbits,_ZL19rocblas_scal_kernelIlLi256EDF16_DF16_DF16_PKPDF16_EviT3_lT4_lT_li,comdat
.Lfunc_end45:
	.size	_ZL19rocblas_scal_kernelIlLi256EDF16_DF16_DF16_PKPDF16_EviT3_lT4_lT_li, .Lfunc_end45-_ZL19rocblas_scal_kernelIlLi256EDF16_DF16_DF16_PKPDF16_EviT3_lT4_lT_li
                                        ; -- End function
	.set _ZL19rocblas_scal_kernelIlLi256EDF16_DF16_DF16_PKPDF16_EviT3_lT4_lT_li.num_vgpr, 4
	.set _ZL19rocblas_scal_kernelIlLi256EDF16_DF16_DF16_PKPDF16_EviT3_lT4_lT_li.num_agpr, 0
	.set _ZL19rocblas_scal_kernelIlLi256EDF16_DF16_DF16_PKPDF16_EviT3_lT4_lT_li.numbered_sgpr, 12
	.set _ZL19rocblas_scal_kernelIlLi256EDF16_DF16_DF16_PKPDF16_EviT3_lT4_lT_li.num_named_barrier, 0
	.set _ZL19rocblas_scal_kernelIlLi256EDF16_DF16_DF16_PKPDF16_EviT3_lT4_lT_li.private_seg_size, 0
	.set _ZL19rocblas_scal_kernelIlLi256EDF16_DF16_DF16_PKPDF16_EviT3_lT4_lT_li.uses_vcc, 1
	.set _ZL19rocblas_scal_kernelIlLi256EDF16_DF16_DF16_PKPDF16_EviT3_lT4_lT_li.uses_flat_scratch, 0
	.set _ZL19rocblas_scal_kernelIlLi256EDF16_DF16_DF16_PKPDF16_EviT3_lT4_lT_li.has_dyn_sized_stack, 0
	.set _ZL19rocblas_scal_kernelIlLi256EDF16_DF16_DF16_PKPDF16_EviT3_lT4_lT_li.has_recursion, 0
	.set _ZL19rocblas_scal_kernelIlLi256EDF16_DF16_DF16_PKPDF16_EviT3_lT4_lT_li.has_indirect_call, 0
	.section	.AMDGPU.csdata,"",@progbits
; Kernel info:
; codeLenInByte = 172
; TotalNumSgprs: 16
; NumVgprs: 4
; ScratchSize: 0
; MemoryBound: 0
; FloatMode: 240
; IeeeMode: 1
; LDSByteSize: 0 bytes/workgroup (compile time only)
; SGPRBlocks: 1
; VGPRBlocks: 0
; NumSGPRsForWavesPerEU: 16
; NumVGPRsForWavesPerEU: 4
; Occupancy: 10
; WaveLimiterHint : 1
; COMPUTE_PGM_RSRC2:SCRATCH_EN: 0
; COMPUTE_PGM_RSRC2:USER_SGPR: 6
; COMPUTE_PGM_RSRC2:TRAP_HANDLER: 0
; COMPUTE_PGM_RSRC2:TGID_X_EN: 1
; COMPUTE_PGM_RSRC2:TGID_Y_EN: 0
; COMPUTE_PGM_RSRC2:TGID_Z_EN: 1
; COMPUTE_PGM_RSRC2:TIDIG_COMP_CNT: 0
	.section	.text._ZL22rocblas_sscal_2_kernelILi256EDF16_DF16_PKfPKPDF16_EviT2_lT3_lli,"axG",@progbits,_ZL22rocblas_sscal_2_kernelILi256EDF16_DF16_PKfPKPDF16_EviT2_lT3_lli,comdat
	.globl	_ZL22rocblas_sscal_2_kernelILi256EDF16_DF16_PKfPKPDF16_EviT2_lT3_lli ; -- Begin function _ZL22rocblas_sscal_2_kernelILi256EDF16_DF16_PKfPKPDF16_EviT2_lT3_lli
	.p2align	8
	.type	_ZL22rocblas_sscal_2_kernelILi256EDF16_DF16_PKfPKPDF16_EviT2_lT3_lli,@function
_ZL22rocblas_sscal_2_kernelILi256EDF16_DF16_PKfPKPDF16_EviT2_lT3_lli: ; @_ZL22rocblas_sscal_2_kernelILi256EDF16_DF16_PKfPKPDF16_EviT2_lT3_lli
; %bb.0:
	s_load_dwordx4 s[8:11], s[4:5], 0x8
	s_waitcnt lgkmcnt(0)
	s_mul_i32 s1, s11, s7
	s_mul_hi_u32 s2, s10, s7
	s_add_i32 s3, s2, s1
	s_mul_i32 s2, s10, s7
	s_lshl_b64 s[2:3], s[2:3], 2
	s_add_u32 s2, s8, s2
	s_addc_u32 s3, s9, s3
	s_load_dword s2, s[2:3], 0x0
	s_waitcnt lgkmcnt(0)
	v_cmp_eq_f32_e64 s[8:9], s2, 1.0
	s_and_b64 vcc, exec, s[8:9]
	s_cbranch_vccnz .LBB46_5
; %bb.1:
	s_load_dwordx4 s[8:11], s[4:5], 0x18
	s_load_dword s3, s[4:5], 0x0
	s_mov_b32 s0, s7
	s_mov_b32 s1, 0
	s_lshl_b64 s[0:1], s[0:1], 3
	s_waitcnt lgkmcnt(0)
	s_add_u32 s0, s8, s0
	s_addc_u32 s1, s9, s1
	s_load_dwordx2 s[0:1], s[0:1], 0x0
	v_lshlrev_b32_e32 v0, 1, v0
	v_lshl_or_b32 v0, s6, 9, v0
	s_lshl_b64 s[4:5], s[10:11], 1
	v_or_b32_e32 v1, 1, v0
	s_waitcnt lgkmcnt(0)
	s_add_u32 s4, s0, s4
	s_addc_u32 s5, s1, s5
	v_cmp_gt_u32_e32 vcc, s3, v1
	s_and_saveexec_b64 s[0:1], vcc
	s_cbranch_execz .LBB46_3
; %bb.2:
	v_mov_b32_e32 v1, 0
	v_lshlrev_b64 v[1:2], 1, v[0:1]
	v_mov_b32_e32 v3, s5
	v_add_co_u32_e32 v1, vcc, s4, v1
	v_addc_co_u32_e32 v2, vcc, v3, v2, vcc
	flat_load_dword v3, v[1:2]
	s_waitcnt vmcnt(0) lgkmcnt(0)
	v_fma_mixlo_f16 v4, s2, v3, 0 op_sel_hi:[0,1,0]
	v_fma_mixhi_f16 v4, s2, v3, 0 op_sel:[0,1,0] op_sel_hi:[0,1,0]
	flat_store_dword v[1:2], v4
.LBB46_3:
	s_or_b64 exec, exec, s[0:1]
	s_bitcmp1_b32 s3, 0
	s_cselect_b64 s[0:1], -1, 0
	s_add_i32 s3, s3, -1
	v_cmp_eq_u32_e32 vcc, s3, v0
	s_and_b64 s[0:1], s[0:1], vcc
	s_and_saveexec_b64 s[6:7], s[0:1]
	s_cbranch_execz .LBB46_5
; %bb.4:
	v_mov_b32_e32 v1, 0
	v_lshlrev_b64 v[0:1], 1, v[0:1]
	v_mov_b32_e32 v2, s5
	v_add_co_u32_e32 v0, vcc, s4, v0
	v_addc_co_u32_e32 v1, vcc, v2, v1, vcc
	flat_load_ushort v2, v[0:1]
	s_waitcnt vmcnt(0) lgkmcnt(0)
	v_fma_mixlo_f16 v2, s2, v2, 0 op_sel_hi:[0,1,0]
	flat_store_short v[0:1], v2
.LBB46_5:
	s_endpgm
	.section	.rodata,"a",@progbits
	.p2align	6, 0x0
	.amdhsa_kernel _ZL22rocblas_sscal_2_kernelILi256EDF16_DF16_PKfPKPDF16_EviT2_lT3_lli
		.amdhsa_group_segment_fixed_size 0
		.amdhsa_private_segment_fixed_size 0
		.amdhsa_kernarg_size 52
		.amdhsa_user_sgpr_count 6
		.amdhsa_user_sgpr_private_segment_buffer 1
		.amdhsa_user_sgpr_dispatch_ptr 0
		.amdhsa_user_sgpr_queue_ptr 0
		.amdhsa_user_sgpr_kernarg_segment_ptr 1
		.amdhsa_user_sgpr_dispatch_id 0
		.amdhsa_user_sgpr_flat_scratch_init 0
		.amdhsa_user_sgpr_private_segment_size 0
		.amdhsa_uses_dynamic_stack 0
		.amdhsa_system_sgpr_private_segment_wavefront_offset 0
		.amdhsa_system_sgpr_workgroup_id_x 1
		.amdhsa_system_sgpr_workgroup_id_y 0
		.amdhsa_system_sgpr_workgroup_id_z 1
		.amdhsa_system_sgpr_workgroup_info 0
		.amdhsa_system_vgpr_workitem_id 0
		.amdhsa_next_free_vgpr 5
		.amdhsa_next_free_sgpr 12
		.amdhsa_reserve_vcc 1
		.amdhsa_reserve_flat_scratch 0
		.amdhsa_float_round_mode_32 0
		.amdhsa_float_round_mode_16_64 0
		.amdhsa_float_denorm_mode_32 3
		.amdhsa_float_denorm_mode_16_64 3
		.amdhsa_dx10_clamp 1
		.amdhsa_ieee_mode 1
		.amdhsa_fp16_overflow 0
		.amdhsa_exception_fp_ieee_invalid_op 0
		.amdhsa_exception_fp_denorm_src 0
		.amdhsa_exception_fp_ieee_div_zero 0
		.amdhsa_exception_fp_ieee_overflow 0
		.amdhsa_exception_fp_ieee_underflow 0
		.amdhsa_exception_fp_ieee_inexact 0
		.amdhsa_exception_int_div_zero 0
	.end_amdhsa_kernel
	.section	.text._ZL22rocblas_sscal_2_kernelILi256EDF16_DF16_PKfPKPDF16_EviT2_lT3_lli,"axG",@progbits,_ZL22rocblas_sscal_2_kernelILi256EDF16_DF16_PKfPKPDF16_EviT2_lT3_lli,comdat
.Lfunc_end46:
	.size	_ZL22rocblas_sscal_2_kernelILi256EDF16_DF16_PKfPKPDF16_EviT2_lT3_lli, .Lfunc_end46-_ZL22rocblas_sscal_2_kernelILi256EDF16_DF16_PKfPKPDF16_EviT2_lT3_lli
                                        ; -- End function
	.set _ZL22rocblas_sscal_2_kernelILi256EDF16_DF16_PKfPKPDF16_EviT2_lT3_lli.num_vgpr, 5
	.set _ZL22rocblas_sscal_2_kernelILi256EDF16_DF16_PKfPKPDF16_EviT2_lT3_lli.num_agpr, 0
	.set _ZL22rocblas_sscal_2_kernelILi256EDF16_DF16_PKfPKPDF16_EviT2_lT3_lli.numbered_sgpr, 12
	.set _ZL22rocblas_sscal_2_kernelILi256EDF16_DF16_PKfPKPDF16_EviT2_lT3_lli.num_named_barrier, 0
	.set _ZL22rocblas_sscal_2_kernelILi256EDF16_DF16_PKfPKPDF16_EviT2_lT3_lli.private_seg_size, 0
	.set _ZL22rocblas_sscal_2_kernelILi256EDF16_DF16_PKfPKPDF16_EviT2_lT3_lli.uses_vcc, 1
	.set _ZL22rocblas_sscal_2_kernelILi256EDF16_DF16_PKfPKPDF16_EviT2_lT3_lli.uses_flat_scratch, 0
	.set _ZL22rocblas_sscal_2_kernelILi256EDF16_DF16_PKfPKPDF16_EviT2_lT3_lli.has_dyn_sized_stack, 0
	.set _ZL22rocblas_sscal_2_kernelILi256EDF16_DF16_PKfPKPDF16_EviT2_lT3_lli.has_recursion, 0
	.set _ZL22rocblas_sscal_2_kernelILi256EDF16_DF16_PKfPKPDF16_EviT2_lT3_lli.has_indirect_call, 0
	.section	.AMDGPU.csdata,"",@progbits
; Kernel info:
; codeLenInByte = 308
; TotalNumSgprs: 16
; NumVgprs: 5
; ScratchSize: 0
; MemoryBound: 0
; FloatMode: 240
; IeeeMode: 1
; LDSByteSize: 0 bytes/workgroup (compile time only)
; SGPRBlocks: 1
; VGPRBlocks: 1
; NumSGPRsForWavesPerEU: 16
; NumVGPRsForWavesPerEU: 5
; Occupancy: 10
; WaveLimiterHint : 1
; COMPUTE_PGM_RSRC2:SCRATCH_EN: 0
; COMPUTE_PGM_RSRC2:USER_SGPR: 6
; COMPUTE_PGM_RSRC2:TRAP_HANDLER: 0
; COMPUTE_PGM_RSRC2:TGID_X_EN: 1
; COMPUTE_PGM_RSRC2:TGID_Y_EN: 0
; COMPUTE_PGM_RSRC2:TGID_Z_EN: 1
; COMPUTE_PGM_RSRC2:TIDIG_COMP_CNT: 0
	.section	.text._ZL22rocblas_sscal_2_kernelILi256EDF16_DF16_fPKPDF16_EviT2_lT3_lli,"axG",@progbits,_ZL22rocblas_sscal_2_kernelILi256EDF16_DF16_fPKPDF16_EviT2_lT3_lli,comdat
	.globl	_ZL22rocblas_sscal_2_kernelILi256EDF16_DF16_fPKPDF16_EviT2_lT3_lli ; -- Begin function _ZL22rocblas_sscal_2_kernelILi256EDF16_DF16_fPKPDF16_EviT2_lT3_lli
	.p2align	8
	.type	_ZL22rocblas_sscal_2_kernelILi256EDF16_DF16_fPKPDF16_EviT2_lT3_lli,@function
_ZL22rocblas_sscal_2_kernelILi256EDF16_DF16_fPKPDF16_EviT2_lT3_lli: ; @_ZL22rocblas_sscal_2_kernelILi256EDF16_DF16_fPKPDF16_EviT2_lT3_lli
; %bb.0:
	s_load_dwordx2 s[0:1], s[4:5], 0x0
	s_waitcnt lgkmcnt(0)
	v_cmp_eq_f32_e64 s[8:9], s1, 1.0
	s_and_b64 vcc, exec, s[8:9]
	s_cbranch_vccnz .LBB47_5
; %bb.1:
	s_load_dwordx4 s[8:11], s[4:5], 0x10
	s_mov_b32 s2, s7
	s_mov_b32 s3, 0
	s_lshl_b64 s[2:3], s[2:3], 3
	v_lshlrev_b32_e32 v0, 1, v0
	s_waitcnt lgkmcnt(0)
	s_add_u32 s2, s8, s2
	s_addc_u32 s3, s9, s3
	s_load_dwordx2 s[2:3], s[2:3], 0x0
	v_lshl_or_b32 v0, s6, 9, v0
	s_lshl_b64 s[4:5], s[10:11], 1
	v_or_b32_e32 v1, 1, v0
	v_cmp_gt_u32_e32 vcc, s0, v1
	s_waitcnt lgkmcnt(0)
	s_add_u32 s4, s2, s4
	s_addc_u32 s5, s3, s5
	s_and_saveexec_b64 s[2:3], vcc
	s_cbranch_execz .LBB47_3
; %bb.2:
	v_mov_b32_e32 v1, 0
	v_lshlrev_b64 v[1:2], 1, v[0:1]
	v_mov_b32_e32 v3, s5
	v_add_co_u32_e32 v1, vcc, s4, v1
	v_addc_co_u32_e32 v2, vcc, v3, v2, vcc
	flat_load_dword v3, v[1:2]
	s_waitcnt vmcnt(0) lgkmcnt(0)
	v_fma_mixlo_f16 v4, s1, v3, 0 op_sel_hi:[0,1,0]
	v_fma_mixhi_f16 v4, s1, v3, 0 op_sel:[0,1,0] op_sel_hi:[0,1,0]
	flat_store_dword v[1:2], v4
.LBB47_3:
	s_or_b64 exec, exec, s[2:3]
	s_bitcmp1_b32 s0, 0
	s_cselect_b64 s[2:3], -1, 0
	s_add_i32 s0, s0, -1
	v_cmp_eq_u32_e32 vcc, s0, v0
	s_and_b64 s[2:3], s[2:3], vcc
	s_and_saveexec_b64 s[6:7], s[2:3]
	s_cbranch_execz .LBB47_5
; %bb.4:
	v_mov_b32_e32 v1, 0
	v_lshlrev_b64 v[0:1], 1, v[0:1]
	v_mov_b32_e32 v2, s5
	v_add_co_u32_e32 v0, vcc, s4, v0
	v_addc_co_u32_e32 v1, vcc, v2, v1, vcc
	flat_load_ushort v2, v[0:1]
	s_waitcnt vmcnt(0) lgkmcnt(0)
	v_fma_mixlo_f16 v2, s1, v2, 0 op_sel_hi:[0,1,0]
	flat_store_short v[0:1], v2
.LBB47_5:
	s_endpgm
	.section	.rodata,"a",@progbits
	.p2align	6, 0x0
	.amdhsa_kernel _ZL22rocblas_sscal_2_kernelILi256EDF16_DF16_fPKPDF16_EviT2_lT3_lli
		.amdhsa_group_segment_fixed_size 0
		.amdhsa_private_segment_fixed_size 0
		.amdhsa_kernarg_size 44
		.amdhsa_user_sgpr_count 6
		.amdhsa_user_sgpr_private_segment_buffer 1
		.amdhsa_user_sgpr_dispatch_ptr 0
		.amdhsa_user_sgpr_queue_ptr 0
		.amdhsa_user_sgpr_kernarg_segment_ptr 1
		.amdhsa_user_sgpr_dispatch_id 0
		.amdhsa_user_sgpr_flat_scratch_init 0
		.amdhsa_user_sgpr_private_segment_size 0
		.amdhsa_uses_dynamic_stack 0
		.amdhsa_system_sgpr_private_segment_wavefront_offset 0
		.amdhsa_system_sgpr_workgroup_id_x 1
		.amdhsa_system_sgpr_workgroup_id_y 0
		.amdhsa_system_sgpr_workgroup_id_z 1
		.amdhsa_system_sgpr_workgroup_info 0
		.amdhsa_system_vgpr_workitem_id 0
		.amdhsa_next_free_vgpr 5
		.amdhsa_next_free_sgpr 12
		.amdhsa_reserve_vcc 1
		.amdhsa_reserve_flat_scratch 0
		.amdhsa_float_round_mode_32 0
		.amdhsa_float_round_mode_16_64 0
		.amdhsa_float_denorm_mode_32 3
		.amdhsa_float_denorm_mode_16_64 3
		.amdhsa_dx10_clamp 1
		.amdhsa_ieee_mode 1
		.amdhsa_fp16_overflow 0
		.amdhsa_exception_fp_ieee_invalid_op 0
		.amdhsa_exception_fp_denorm_src 0
		.amdhsa_exception_fp_ieee_div_zero 0
		.amdhsa_exception_fp_ieee_overflow 0
		.amdhsa_exception_fp_ieee_underflow 0
		.amdhsa_exception_fp_ieee_inexact 0
		.amdhsa_exception_int_div_zero 0
	.end_amdhsa_kernel
	.section	.text._ZL22rocblas_sscal_2_kernelILi256EDF16_DF16_fPKPDF16_EviT2_lT3_lli,"axG",@progbits,_ZL22rocblas_sscal_2_kernelILi256EDF16_DF16_fPKPDF16_EviT2_lT3_lli,comdat
.Lfunc_end47:
	.size	_ZL22rocblas_sscal_2_kernelILi256EDF16_DF16_fPKPDF16_EviT2_lT3_lli, .Lfunc_end47-_ZL22rocblas_sscal_2_kernelILi256EDF16_DF16_fPKPDF16_EviT2_lT3_lli
                                        ; -- End function
	.set _ZL22rocblas_sscal_2_kernelILi256EDF16_DF16_fPKPDF16_EviT2_lT3_lli.num_vgpr, 5
	.set _ZL22rocblas_sscal_2_kernelILi256EDF16_DF16_fPKPDF16_EviT2_lT3_lli.num_agpr, 0
	.set _ZL22rocblas_sscal_2_kernelILi256EDF16_DF16_fPKPDF16_EviT2_lT3_lli.numbered_sgpr, 12
	.set _ZL22rocblas_sscal_2_kernelILi256EDF16_DF16_fPKPDF16_EviT2_lT3_lli.num_named_barrier, 0
	.set _ZL22rocblas_sscal_2_kernelILi256EDF16_DF16_fPKPDF16_EviT2_lT3_lli.private_seg_size, 0
	.set _ZL22rocblas_sscal_2_kernelILi256EDF16_DF16_fPKPDF16_EviT2_lT3_lli.uses_vcc, 1
	.set _ZL22rocblas_sscal_2_kernelILi256EDF16_DF16_fPKPDF16_EviT2_lT3_lli.uses_flat_scratch, 0
	.set _ZL22rocblas_sscal_2_kernelILi256EDF16_DF16_fPKPDF16_EviT2_lT3_lli.has_dyn_sized_stack, 0
	.set _ZL22rocblas_sscal_2_kernelILi256EDF16_DF16_fPKPDF16_EviT2_lT3_lli.has_recursion, 0
	.set _ZL22rocblas_sscal_2_kernelILi256EDF16_DF16_fPKPDF16_EviT2_lT3_lli.has_indirect_call, 0
	.section	.AMDGPU.csdata,"",@progbits
; Kernel info:
; codeLenInByte = 260
; TotalNumSgprs: 16
; NumVgprs: 5
; ScratchSize: 0
; MemoryBound: 0
; FloatMode: 240
; IeeeMode: 1
; LDSByteSize: 0 bytes/workgroup (compile time only)
; SGPRBlocks: 1
; VGPRBlocks: 1
; NumSGPRsForWavesPerEU: 16
; NumVGPRsForWavesPerEU: 5
; Occupancy: 10
; WaveLimiterHint : 1
; COMPUTE_PGM_RSRC2:SCRATCH_EN: 0
; COMPUTE_PGM_RSRC2:USER_SGPR: 6
; COMPUTE_PGM_RSRC2:TRAP_HANDLER: 0
; COMPUTE_PGM_RSRC2:TGID_X_EN: 1
; COMPUTE_PGM_RSRC2:TGID_Y_EN: 0
; COMPUTE_PGM_RSRC2:TGID_Z_EN: 1
; COMPUTE_PGM_RSRC2:TIDIG_COMP_CNT: 0
	.section	.text._ZL19rocblas_scal_kernelIiLi256EDF16_DF16_PKfPKPDF16_EviT3_lT4_lT_li,"axG",@progbits,_ZL19rocblas_scal_kernelIiLi256EDF16_DF16_PKfPKPDF16_EviT3_lT4_lT_li,comdat
	.globl	_ZL19rocblas_scal_kernelIiLi256EDF16_DF16_PKfPKPDF16_EviT3_lT4_lT_li ; -- Begin function _ZL19rocblas_scal_kernelIiLi256EDF16_DF16_PKfPKPDF16_EviT3_lT4_lT_li
	.p2align	8
	.type	_ZL19rocblas_scal_kernelIiLi256EDF16_DF16_PKfPKPDF16_EviT3_lT4_lT_li,@function
_ZL19rocblas_scal_kernelIiLi256EDF16_DF16_PKfPKPDF16_EviT3_lT4_lT_li: ; @_ZL19rocblas_scal_kernelIiLi256EDF16_DF16_PKfPKPDF16_EviT3_lT4_lT_li
; %bb.0:
	s_load_dwordx8 s[8:15], s[4:5], 0x8
	v_lshl_or_b32 v0, s6, 8, v0
	s_mov_b32 s0, s7
	s_waitcnt lgkmcnt(0)
	s_mul_i32 s1, s11, s7
	s_mul_hi_u32 s2, s10, s7
	s_add_i32 s3, s2, s1
	s_mul_i32 s2, s10, s7
	s_lshl_b64 s[2:3], s[2:3], 2
	s_add_u32 s8, s8, s2
	s_addc_u32 s9, s9, s3
	s_load_dword s2, s[8:9], 0x0
	s_load_dword s1, s[4:5], 0x0
	s_waitcnt lgkmcnt(0)
	v_cmp_neq_f32_e64 s[6:7], s2, 1.0
	v_cmp_gt_u32_e32 vcc, s1, v0
	s_and_b64 s[6:7], vcc, s[6:7]
	s_and_saveexec_b64 s[8:9], s[6:7]
	s_cbranch_execz .LBB48_2
; %bb.1:
	s_load_dword s3, s[4:5], 0x28
	s_mov_b32 s1, 0
	s_lshl_b64 s[0:1], s[0:1], 3
	s_waitcnt lgkmcnt(0)
	s_ashr_i32 s6, s3, 31
	v_mad_u64_u32 v[1:2], s[4:5], s3, v0, 0
	s_add_u32 s0, s12, s0
	s_addc_u32 s1, s13, s1
	s_load_dwordx2 s[0:1], s[0:1], 0x0
	v_mad_u64_u32 v[2:3], s[4:5], s6, v0, v[2:3]
	s_lshl_b64 s[4:5], s[14:15], 1
	s_waitcnt lgkmcnt(0)
	s_add_u32 s0, s0, s4
	v_lshlrev_b64 v[0:1], 1, v[1:2]
	s_addc_u32 s1, s1, s5
	v_mov_b32_e32 v2, s1
	v_add_co_u32_e32 v0, vcc, s0, v0
	v_addc_co_u32_e32 v1, vcc, v2, v1, vcc
	flat_load_ushort v2, v[0:1]
	s_waitcnt vmcnt(0) lgkmcnt(0)
	v_fma_mixlo_f16 v2, s2, v2, 0 op_sel_hi:[0,1,0]
	flat_store_short v[0:1], v2
.LBB48_2:
	s_endpgm
	.section	.rodata,"a",@progbits
	.p2align	6, 0x0
	.amdhsa_kernel _ZL19rocblas_scal_kernelIiLi256EDF16_DF16_PKfPKPDF16_EviT3_lT4_lT_li
		.amdhsa_group_segment_fixed_size 0
		.amdhsa_private_segment_fixed_size 0
		.amdhsa_kernarg_size 60
		.amdhsa_user_sgpr_count 6
		.amdhsa_user_sgpr_private_segment_buffer 1
		.amdhsa_user_sgpr_dispatch_ptr 0
		.amdhsa_user_sgpr_queue_ptr 0
		.amdhsa_user_sgpr_kernarg_segment_ptr 1
		.amdhsa_user_sgpr_dispatch_id 0
		.amdhsa_user_sgpr_flat_scratch_init 0
		.amdhsa_user_sgpr_private_segment_size 0
		.amdhsa_uses_dynamic_stack 0
		.amdhsa_system_sgpr_private_segment_wavefront_offset 0
		.amdhsa_system_sgpr_workgroup_id_x 1
		.amdhsa_system_sgpr_workgroup_id_y 0
		.amdhsa_system_sgpr_workgroup_id_z 1
		.amdhsa_system_sgpr_workgroup_info 0
		.amdhsa_system_vgpr_workitem_id 0
		.amdhsa_next_free_vgpr 4
		.amdhsa_next_free_sgpr 16
		.amdhsa_reserve_vcc 1
		.amdhsa_reserve_flat_scratch 0
		.amdhsa_float_round_mode_32 0
		.amdhsa_float_round_mode_16_64 0
		.amdhsa_float_denorm_mode_32 3
		.amdhsa_float_denorm_mode_16_64 3
		.amdhsa_dx10_clamp 1
		.amdhsa_ieee_mode 1
		.amdhsa_fp16_overflow 0
		.amdhsa_exception_fp_ieee_invalid_op 0
		.amdhsa_exception_fp_denorm_src 0
		.amdhsa_exception_fp_ieee_div_zero 0
		.amdhsa_exception_fp_ieee_overflow 0
		.amdhsa_exception_fp_ieee_underflow 0
		.amdhsa_exception_fp_ieee_inexact 0
		.amdhsa_exception_int_div_zero 0
	.end_amdhsa_kernel
	.section	.text._ZL19rocblas_scal_kernelIiLi256EDF16_DF16_PKfPKPDF16_EviT3_lT4_lT_li,"axG",@progbits,_ZL19rocblas_scal_kernelIiLi256EDF16_DF16_PKfPKPDF16_EviT3_lT4_lT_li,comdat
.Lfunc_end48:
	.size	_ZL19rocblas_scal_kernelIiLi256EDF16_DF16_PKfPKPDF16_EviT3_lT4_lT_li, .Lfunc_end48-_ZL19rocblas_scal_kernelIiLi256EDF16_DF16_PKfPKPDF16_EviT3_lT4_lT_li
                                        ; -- End function
	.set _ZL19rocblas_scal_kernelIiLi256EDF16_DF16_PKfPKPDF16_EviT3_lT4_lT_li.num_vgpr, 4
	.set _ZL19rocblas_scal_kernelIiLi256EDF16_DF16_PKfPKPDF16_EviT3_lT4_lT_li.num_agpr, 0
	.set _ZL19rocblas_scal_kernelIiLi256EDF16_DF16_PKfPKPDF16_EviT3_lT4_lT_li.numbered_sgpr, 16
	.set _ZL19rocblas_scal_kernelIiLi256EDF16_DF16_PKfPKPDF16_EviT3_lT4_lT_li.num_named_barrier, 0
	.set _ZL19rocblas_scal_kernelIiLi256EDF16_DF16_PKfPKPDF16_EviT3_lT4_lT_li.private_seg_size, 0
	.set _ZL19rocblas_scal_kernelIiLi256EDF16_DF16_PKfPKPDF16_EviT3_lT4_lT_li.uses_vcc, 1
	.set _ZL19rocblas_scal_kernelIiLi256EDF16_DF16_PKfPKPDF16_EviT3_lT4_lT_li.uses_flat_scratch, 0
	.set _ZL19rocblas_scal_kernelIiLi256EDF16_DF16_PKfPKPDF16_EviT3_lT4_lT_li.has_dyn_sized_stack, 0
	.set _ZL19rocblas_scal_kernelIiLi256EDF16_DF16_PKfPKPDF16_EviT3_lT4_lT_li.has_recursion, 0
	.set _ZL19rocblas_scal_kernelIiLi256EDF16_DF16_PKfPKPDF16_EviT3_lT4_lT_li.has_indirect_call, 0
	.section	.AMDGPU.csdata,"",@progbits
; Kernel info:
; codeLenInByte = 220
; TotalNumSgprs: 20
; NumVgprs: 4
; ScratchSize: 0
; MemoryBound: 0
; FloatMode: 240
; IeeeMode: 1
; LDSByteSize: 0 bytes/workgroup (compile time only)
; SGPRBlocks: 2
; VGPRBlocks: 0
; NumSGPRsForWavesPerEU: 20
; NumVGPRsForWavesPerEU: 4
; Occupancy: 10
; WaveLimiterHint : 1
; COMPUTE_PGM_RSRC2:SCRATCH_EN: 0
; COMPUTE_PGM_RSRC2:USER_SGPR: 6
; COMPUTE_PGM_RSRC2:TRAP_HANDLER: 0
; COMPUTE_PGM_RSRC2:TGID_X_EN: 1
; COMPUTE_PGM_RSRC2:TGID_Y_EN: 0
; COMPUTE_PGM_RSRC2:TGID_Z_EN: 1
; COMPUTE_PGM_RSRC2:TIDIG_COMP_CNT: 0
	.section	.text._ZL19rocblas_scal_kernelIiLi256EDF16_DF16_fPKPDF16_EviT3_lT4_lT_li,"axG",@progbits,_ZL19rocblas_scal_kernelIiLi256EDF16_DF16_fPKPDF16_EviT3_lT4_lT_li,comdat
	.globl	_ZL19rocblas_scal_kernelIiLi256EDF16_DF16_fPKPDF16_EviT3_lT4_lT_li ; -- Begin function _ZL19rocblas_scal_kernelIiLi256EDF16_DF16_fPKPDF16_EviT3_lT4_lT_li
	.p2align	8
	.type	_ZL19rocblas_scal_kernelIiLi256EDF16_DF16_fPKPDF16_EviT3_lT4_lT_li,@function
_ZL19rocblas_scal_kernelIiLi256EDF16_DF16_fPKPDF16_EviT3_lT4_lT_li: ; @_ZL19rocblas_scal_kernelIiLi256EDF16_DF16_fPKPDF16_EviT3_lT4_lT_li
; %bb.0:
	s_load_dwordx2 s[0:1], s[4:5], 0x0
	v_lshl_or_b32 v0, s6, 8, v0
	s_mov_b32 s2, s7
	s_waitcnt lgkmcnt(0)
	v_cmp_neq_f32_e64 s[6:7], s1, 1.0
	v_cmp_gt_u32_e32 vcc, s0, v0
	s_and_b64 s[6:7], vcc, s[6:7]
	s_and_saveexec_b64 s[8:9], s[6:7]
	s_cbranch_execz .LBB49_2
; %bb.1:
	s_load_dword s0, s[4:5], 0x20
	s_load_dwordx4 s[8:11], s[4:5], 0x10
	s_mov_b32 s3, 0
	s_lshl_b64 s[2:3], s[2:3], 3
	s_waitcnt lgkmcnt(0)
	s_ashr_i32 s6, s0, 31
	v_mad_u64_u32 v[1:2], s[4:5], s0, v0, 0
	s_add_u32 s2, s8, s2
	s_addc_u32 s3, s9, s3
	s_load_dwordx2 s[2:3], s[2:3], 0x0
	v_mad_u64_u32 v[2:3], s[4:5], s6, v0, v[2:3]
	s_lshl_b64 s[4:5], s[10:11], 1
	s_waitcnt lgkmcnt(0)
	s_add_u32 s0, s2, s4
	v_lshlrev_b64 v[0:1], 1, v[1:2]
	s_addc_u32 s2, s3, s5
	v_mov_b32_e32 v2, s2
	v_add_co_u32_e32 v0, vcc, s0, v0
	v_addc_co_u32_e32 v1, vcc, v2, v1, vcc
	flat_load_ushort v2, v[0:1]
	s_waitcnt vmcnt(0) lgkmcnt(0)
	v_fma_mixlo_f16 v2, s1, v2, 0 op_sel_hi:[0,1,0]
	flat_store_short v[0:1], v2
.LBB49_2:
	s_endpgm
	.section	.rodata,"a",@progbits
	.p2align	6, 0x0
	.amdhsa_kernel _ZL19rocblas_scal_kernelIiLi256EDF16_DF16_fPKPDF16_EviT3_lT4_lT_li
		.amdhsa_group_segment_fixed_size 0
		.amdhsa_private_segment_fixed_size 0
		.amdhsa_kernarg_size 52
		.amdhsa_user_sgpr_count 6
		.amdhsa_user_sgpr_private_segment_buffer 1
		.amdhsa_user_sgpr_dispatch_ptr 0
		.amdhsa_user_sgpr_queue_ptr 0
		.amdhsa_user_sgpr_kernarg_segment_ptr 1
		.amdhsa_user_sgpr_dispatch_id 0
		.amdhsa_user_sgpr_flat_scratch_init 0
		.amdhsa_user_sgpr_private_segment_size 0
		.amdhsa_uses_dynamic_stack 0
		.amdhsa_system_sgpr_private_segment_wavefront_offset 0
		.amdhsa_system_sgpr_workgroup_id_x 1
		.amdhsa_system_sgpr_workgroup_id_y 0
		.amdhsa_system_sgpr_workgroup_id_z 1
		.amdhsa_system_sgpr_workgroup_info 0
		.amdhsa_system_vgpr_workitem_id 0
		.amdhsa_next_free_vgpr 4
		.amdhsa_next_free_sgpr 12
		.amdhsa_reserve_vcc 1
		.amdhsa_reserve_flat_scratch 0
		.amdhsa_float_round_mode_32 0
		.amdhsa_float_round_mode_16_64 0
		.amdhsa_float_denorm_mode_32 3
		.amdhsa_float_denorm_mode_16_64 3
		.amdhsa_dx10_clamp 1
		.amdhsa_ieee_mode 1
		.amdhsa_fp16_overflow 0
		.amdhsa_exception_fp_ieee_invalid_op 0
		.amdhsa_exception_fp_denorm_src 0
		.amdhsa_exception_fp_ieee_div_zero 0
		.amdhsa_exception_fp_ieee_overflow 0
		.amdhsa_exception_fp_ieee_underflow 0
		.amdhsa_exception_fp_ieee_inexact 0
		.amdhsa_exception_int_div_zero 0
	.end_amdhsa_kernel
	.section	.text._ZL19rocblas_scal_kernelIiLi256EDF16_DF16_fPKPDF16_EviT3_lT4_lT_li,"axG",@progbits,_ZL19rocblas_scal_kernelIiLi256EDF16_DF16_fPKPDF16_EviT3_lT4_lT_li,comdat
.Lfunc_end49:
	.size	_ZL19rocblas_scal_kernelIiLi256EDF16_DF16_fPKPDF16_EviT3_lT4_lT_li, .Lfunc_end49-_ZL19rocblas_scal_kernelIiLi256EDF16_DF16_fPKPDF16_EviT3_lT4_lT_li
                                        ; -- End function
	.set _ZL19rocblas_scal_kernelIiLi256EDF16_DF16_fPKPDF16_EviT3_lT4_lT_li.num_vgpr, 4
	.set _ZL19rocblas_scal_kernelIiLi256EDF16_DF16_fPKPDF16_EviT3_lT4_lT_li.num_agpr, 0
	.set _ZL19rocblas_scal_kernelIiLi256EDF16_DF16_fPKPDF16_EviT3_lT4_lT_li.numbered_sgpr, 12
	.set _ZL19rocblas_scal_kernelIiLi256EDF16_DF16_fPKPDF16_EviT3_lT4_lT_li.num_named_barrier, 0
	.set _ZL19rocblas_scal_kernelIiLi256EDF16_DF16_fPKPDF16_EviT3_lT4_lT_li.private_seg_size, 0
	.set _ZL19rocblas_scal_kernelIiLi256EDF16_DF16_fPKPDF16_EviT3_lT4_lT_li.uses_vcc, 1
	.set _ZL19rocblas_scal_kernelIiLi256EDF16_DF16_fPKPDF16_EviT3_lT4_lT_li.uses_flat_scratch, 0
	.set _ZL19rocblas_scal_kernelIiLi256EDF16_DF16_fPKPDF16_EviT3_lT4_lT_li.has_dyn_sized_stack, 0
	.set _ZL19rocblas_scal_kernelIiLi256EDF16_DF16_fPKPDF16_EviT3_lT4_lT_li.has_recursion, 0
	.set _ZL19rocblas_scal_kernelIiLi256EDF16_DF16_fPKPDF16_EviT3_lT4_lT_li.has_indirect_call, 0
	.section	.AMDGPU.csdata,"",@progbits
; Kernel info:
; codeLenInByte = 180
; TotalNumSgprs: 16
; NumVgprs: 4
; ScratchSize: 0
; MemoryBound: 0
; FloatMode: 240
; IeeeMode: 1
; LDSByteSize: 0 bytes/workgroup (compile time only)
; SGPRBlocks: 1
; VGPRBlocks: 0
; NumSGPRsForWavesPerEU: 16
; NumVGPRsForWavesPerEU: 4
; Occupancy: 10
; WaveLimiterHint : 1
; COMPUTE_PGM_RSRC2:SCRATCH_EN: 0
; COMPUTE_PGM_RSRC2:USER_SGPR: 6
; COMPUTE_PGM_RSRC2:TRAP_HANDLER: 0
; COMPUTE_PGM_RSRC2:TGID_X_EN: 1
; COMPUTE_PGM_RSRC2:TGID_Y_EN: 0
; COMPUTE_PGM_RSRC2:TGID_Z_EN: 1
; COMPUTE_PGM_RSRC2:TIDIG_COMP_CNT: 0
	.section	.text._ZL19rocblas_scal_kernelIlLi256EDF16_DF16_PKfPKPDF16_EviT3_lT4_lT_li,"axG",@progbits,_ZL19rocblas_scal_kernelIlLi256EDF16_DF16_PKfPKPDF16_EviT3_lT4_lT_li,comdat
	.globl	_ZL19rocblas_scal_kernelIlLi256EDF16_DF16_PKfPKPDF16_EviT3_lT4_lT_li ; -- Begin function _ZL19rocblas_scal_kernelIlLi256EDF16_DF16_PKfPKPDF16_EviT3_lT4_lT_li
	.p2align	8
	.type	_ZL19rocblas_scal_kernelIlLi256EDF16_DF16_PKfPKPDF16_EviT3_lT4_lT_li,@function
_ZL19rocblas_scal_kernelIlLi256EDF16_DF16_PKfPKPDF16_EviT3_lT4_lT_li: ; @_ZL19rocblas_scal_kernelIlLi256EDF16_DF16_PKfPKPDF16_EviT3_lT4_lT_li
; %bb.0:
	s_load_dwordx8 s[8:15], s[4:5], 0x8
	v_lshl_or_b32 v0, s6, 8, v0
	s_mov_b32 s0, s7
	s_waitcnt lgkmcnt(0)
	s_mul_i32 s1, s11, s7
	s_mul_hi_u32 s2, s10, s7
	s_add_i32 s3, s2, s1
	s_mul_i32 s2, s10, s7
	s_lshl_b64 s[2:3], s[2:3], 2
	s_add_u32 s8, s8, s2
	s_addc_u32 s9, s9, s3
	s_load_dword s2, s[8:9], 0x0
	s_load_dword s1, s[4:5], 0x0
	s_waitcnt lgkmcnt(0)
	v_cmp_neq_f32_e64 s[6:7], s2, 1.0
	v_cmp_gt_u32_e32 vcc, s1, v0
	s_and_b64 s[6:7], vcc, s[6:7]
	s_and_saveexec_b64 s[8:9], s[6:7]
	s_cbranch_execz .LBB50_2
; %bb.1:
	s_load_dwordx2 s[4:5], s[4:5], 0x28
	s_mov_b32 s1, 0
	s_lshl_b64 s[0:1], s[0:1], 3
	s_add_u32 s0, s12, s0
	s_addc_u32 s1, s13, s1
	s_waitcnt lgkmcnt(0)
	v_mad_u64_u32 v[1:2], s[6:7], s4, v0, 0
	s_load_dwordx2 s[0:1], s[0:1], 0x0
	v_mad_u64_u32 v[2:3], s[4:5], s5, v0, v[2:3]
	s_lshl_b64 s[4:5], s[14:15], 1
	s_waitcnt lgkmcnt(0)
	s_add_u32 s0, s0, s4
	v_lshlrev_b64 v[0:1], 1, v[1:2]
	s_addc_u32 s1, s1, s5
	v_mov_b32_e32 v2, s1
	v_add_co_u32_e32 v0, vcc, s0, v0
	v_addc_co_u32_e32 v1, vcc, v2, v1, vcc
	flat_load_ushort v2, v[0:1]
	s_waitcnt vmcnt(0) lgkmcnt(0)
	v_fma_mixlo_f16 v2, s2, v2, 0 op_sel_hi:[0,1,0]
	flat_store_short v[0:1], v2
.LBB50_2:
	s_endpgm
	.section	.rodata,"a",@progbits
	.p2align	6, 0x0
	.amdhsa_kernel _ZL19rocblas_scal_kernelIlLi256EDF16_DF16_PKfPKPDF16_EviT3_lT4_lT_li
		.amdhsa_group_segment_fixed_size 0
		.amdhsa_private_segment_fixed_size 0
		.amdhsa_kernarg_size 60
		.amdhsa_user_sgpr_count 6
		.amdhsa_user_sgpr_private_segment_buffer 1
		.amdhsa_user_sgpr_dispatch_ptr 0
		.amdhsa_user_sgpr_queue_ptr 0
		.amdhsa_user_sgpr_kernarg_segment_ptr 1
		.amdhsa_user_sgpr_dispatch_id 0
		.amdhsa_user_sgpr_flat_scratch_init 0
		.amdhsa_user_sgpr_private_segment_size 0
		.amdhsa_uses_dynamic_stack 0
		.amdhsa_system_sgpr_private_segment_wavefront_offset 0
		.amdhsa_system_sgpr_workgroup_id_x 1
		.amdhsa_system_sgpr_workgroup_id_y 0
		.amdhsa_system_sgpr_workgroup_id_z 1
		.amdhsa_system_sgpr_workgroup_info 0
		.amdhsa_system_vgpr_workitem_id 0
		.amdhsa_next_free_vgpr 4
		.amdhsa_next_free_sgpr 16
		.amdhsa_reserve_vcc 1
		.amdhsa_reserve_flat_scratch 0
		.amdhsa_float_round_mode_32 0
		.amdhsa_float_round_mode_16_64 0
		.amdhsa_float_denorm_mode_32 3
		.amdhsa_float_denorm_mode_16_64 3
		.amdhsa_dx10_clamp 1
		.amdhsa_ieee_mode 1
		.amdhsa_fp16_overflow 0
		.amdhsa_exception_fp_ieee_invalid_op 0
		.amdhsa_exception_fp_denorm_src 0
		.amdhsa_exception_fp_ieee_div_zero 0
		.amdhsa_exception_fp_ieee_overflow 0
		.amdhsa_exception_fp_ieee_underflow 0
		.amdhsa_exception_fp_ieee_inexact 0
		.amdhsa_exception_int_div_zero 0
	.end_amdhsa_kernel
	.section	.text._ZL19rocblas_scal_kernelIlLi256EDF16_DF16_PKfPKPDF16_EviT3_lT4_lT_li,"axG",@progbits,_ZL19rocblas_scal_kernelIlLi256EDF16_DF16_PKfPKPDF16_EviT3_lT4_lT_li,comdat
.Lfunc_end50:
	.size	_ZL19rocblas_scal_kernelIlLi256EDF16_DF16_PKfPKPDF16_EviT3_lT4_lT_li, .Lfunc_end50-_ZL19rocblas_scal_kernelIlLi256EDF16_DF16_PKfPKPDF16_EviT3_lT4_lT_li
                                        ; -- End function
	.set _ZL19rocblas_scal_kernelIlLi256EDF16_DF16_PKfPKPDF16_EviT3_lT4_lT_li.num_vgpr, 4
	.set _ZL19rocblas_scal_kernelIlLi256EDF16_DF16_PKfPKPDF16_EviT3_lT4_lT_li.num_agpr, 0
	.set _ZL19rocblas_scal_kernelIlLi256EDF16_DF16_PKfPKPDF16_EviT3_lT4_lT_li.numbered_sgpr, 16
	.set _ZL19rocblas_scal_kernelIlLi256EDF16_DF16_PKfPKPDF16_EviT3_lT4_lT_li.num_named_barrier, 0
	.set _ZL19rocblas_scal_kernelIlLi256EDF16_DF16_PKfPKPDF16_EviT3_lT4_lT_li.private_seg_size, 0
	.set _ZL19rocblas_scal_kernelIlLi256EDF16_DF16_PKfPKPDF16_EviT3_lT4_lT_li.uses_vcc, 1
	.set _ZL19rocblas_scal_kernelIlLi256EDF16_DF16_PKfPKPDF16_EviT3_lT4_lT_li.uses_flat_scratch, 0
	.set _ZL19rocblas_scal_kernelIlLi256EDF16_DF16_PKfPKPDF16_EviT3_lT4_lT_li.has_dyn_sized_stack, 0
	.set _ZL19rocblas_scal_kernelIlLi256EDF16_DF16_PKfPKPDF16_EviT3_lT4_lT_li.has_recursion, 0
	.set _ZL19rocblas_scal_kernelIlLi256EDF16_DF16_PKfPKPDF16_EviT3_lT4_lT_li.has_indirect_call, 0
	.section	.AMDGPU.csdata,"",@progbits
; Kernel info:
; codeLenInByte = 216
; TotalNumSgprs: 20
; NumVgprs: 4
; ScratchSize: 0
; MemoryBound: 0
; FloatMode: 240
; IeeeMode: 1
; LDSByteSize: 0 bytes/workgroup (compile time only)
; SGPRBlocks: 2
; VGPRBlocks: 0
; NumSGPRsForWavesPerEU: 20
; NumVGPRsForWavesPerEU: 4
; Occupancy: 10
; WaveLimiterHint : 1
; COMPUTE_PGM_RSRC2:SCRATCH_EN: 0
; COMPUTE_PGM_RSRC2:USER_SGPR: 6
; COMPUTE_PGM_RSRC2:TRAP_HANDLER: 0
; COMPUTE_PGM_RSRC2:TGID_X_EN: 1
; COMPUTE_PGM_RSRC2:TGID_Y_EN: 0
; COMPUTE_PGM_RSRC2:TGID_Z_EN: 1
; COMPUTE_PGM_RSRC2:TIDIG_COMP_CNT: 0
	.section	.text._ZL19rocblas_scal_kernelIlLi256EDF16_DF16_fPKPDF16_EviT3_lT4_lT_li,"axG",@progbits,_ZL19rocblas_scal_kernelIlLi256EDF16_DF16_fPKPDF16_EviT3_lT4_lT_li,comdat
	.globl	_ZL19rocblas_scal_kernelIlLi256EDF16_DF16_fPKPDF16_EviT3_lT4_lT_li ; -- Begin function _ZL19rocblas_scal_kernelIlLi256EDF16_DF16_fPKPDF16_EviT3_lT4_lT_li
	.p2align	8
	.type	_ZL19rocblas_scal_kernelIlLi256EDF16_DF16_fPKPDF16_EviT3_lT4_lT_li,@function
_ZL19rocblas_scal_kernelIlLi256EDF16_DF16_fPKPDF16_EviT3_lT4_lT_li: ; @_ZL19rocblas_scal_kernelIlLi256EDF16_DF16_fPKPDF16_EviT3_lT4_lT_li
; %bb.0:
	s_load_dwordx2 s[0:1], s[4:5], 0x0
	v_lshl_or_b32 v0, s6, 8, v0
	s_mov_b32 s2, s7
	s_waitcnt lgkmcnt(0)
	v_cmp_neq_f32_e64 s[6:7], s1, 1.0
	v_cmp_gt_u32_e32 vcc, s0, v0
	s_and_b64 s[6:7], vcc, s[6:7]
	s_and_saveexec_b64 s[8:9], s[6:7]
	s_cbranch_execz .LBB51_2
; %bb.1:
	s_load_dwordx2 s[6:7], s[4:5], 0x20
	s_load_dwordx4 s[8:11], s[4:5], 0x10
	s_mov_b32 s3, 0
	s_lshl_b64 s[2:3], s[2:3], 3
	s_waitcnt lgkmcnt(0)
	v_mad_u64_u32 v[1:2], s[4:5], s6, v0, 0
	s_add_u32 s2, s8, s2
	s_addc_u32 s3, s9, s3
	s_load_dwordx2 s[2:3], s[2:3], 0x0
	v_mad_u64_u32 v[2:3], s[4:5], s7, v0, v[2:3]
	s_lshl_b64 s[4:5], s[10:11], 1
	s_waitcnt lgkmcnt(0)
	s_add_u32 s0, s2, s4
	v_lshlrev_b64 v[0:1], 1, v[1:2]
	s_addc_u32 s2, s3, s5
	v_mov_b32_e32 v2, s2
	v_add_co_u32_e32 v0, vcc, s0, v0
	v_addc_co_u32_e32 v1, vcc, v2, v1, vcc
	flat_load_ushort v2, v[0:1]
	s_waitcnt vmcnt(0) lgkmcnt(0)
	v_fma_mixlo_f16 v2, s1, v2, 0 op_sel_hi:[0,1,0]
	flat_store_short v[0:1], v2
.LBB51_2:
	s_endpgm
	.section	.rodata,"a",@progbits
	.p2align	6, 0x0
	.amdhsa_kernel _ZL19rocblas_scal_kernelIlLi256EDF16_DF16_fPKPDF16_EviT3_lT4_lT_li
		.amdhsa_group_segment_fixed_size 0
		.amdhsa_private_segment_fixed_size 0
		.amdhsa_kernarg_size 52
		.amdhsa_user_sgpr_count 6
		.amdhsa_user_sgpr_private_segment_buffer 1
		.amdhsa_user_sgpr_dispatch_ptr 0
		.amdhsa_user_sgpr_queue_ptr 0
		.amdhsa_user_sgpr_kernarg_segment_ptr 1
		.amdhsa_user_sgpr_dispatch_id 0
		.amdhsa_user_sgpr_flat_scratch_init 0
		.amdhsa_user_sgpr_private_segment_size 0
		.amdhsa_uses_dynamic_stack 0
		.amdhsa_system_sgpr_private_segment_wavefront_offset 0
		.amdhsa_system_sgpr_workgroup_id_x 1
		.amdhsa_system_sgpr_workgroup_id_y 0
		.amdhsa_system_sgpr_workgroup_id_z 1
		.amdhsa_system_sgpr_workgroup_info 0
		.amdhsa_system_vgpr_workitem_id 0
		.amdhsa_next_free_vgpr 4
		.amdhsa_next_free_sgpr 12
		.amdhsa_reserve_vcc 1
		.amdhsa_reserve_flat_scratch 0
		.amdhsa_float_round_mode_32 0
		.amdhsa_float_round_mode_16_64 0
		.amdhsa_float_denorm_mode_32 3
		.amdhsa_float_denorm_mode_16_64 3
		.amdhsa_dx10_clamp 1
		.amdhsa_ieee_mode 1
		.amdhsa_fp16_overflow 0
		.amdhsa_exception_fp_ieee_invalid_op 0
		.amdhsa_exception_fp_denorm_src 0
		.amdhsa_exception_fp_ieee_div_zero 0
		.amdhsa_exception_fp_ieee_overflow 0
		.amdhsa_exception_fp_ieee_underflow 0
		.amdhsa_exception_fp_ieee_inexact 0
		.amdhsa_exception_int_div_zero 0
	.end_amdhsa_kernel
	.section	.text._ZL19rocblas_scal_kernelIlLi256EDF16_DF16_fPKPDF16_EviT3_lT4_lT_li,"axG",@progbits,_ZL19rocblas_scal_kernelIlLi256EDF16_DF16_fPKPDF16_EviT3_lT4_lT_li,comdat
.Lfunc_end51:
	.size	_ZL19rocblas_scal_kernelIlLi256EDF16_DF16_fPKPDF16_EviT3_lT4_lT_li, .Lfunc_end51-_ZL19rocblas_scal_kernelIlLi256EDF16_DF16_fPKPDF16_EviT3_lT4_lT_li
                                        ; -- End function
	.set _ZL19rocblas_scal_kernelIlLi256EDF16_DF16_fPKPDF16_EviT3_lT4_lT_li.num_vgpr, 4
	.set _ZL19rocblas_scal_kernelIlLi256EDF16_DF16_fPKPDF16_EviT3_lT4_lT_li.num_agpr, 0
	.set _ZL19rocblas_scal_kernelIlLi256EDF16_DF16_fPKPDF16_EviT3_lT4_lT_li.numbered_sgpr, 12
	.set _ZL19rocblas_scal_kernelIlLi256EDF16_DF16_fPKPDF16_EviT3_lT4_lT_li.num_named_barrier, 0
	.set _ZL19rocblas_scal_kernelIlLi256EDF16_DF16_fPKPDF16_EviT3_lT4_lT_li.private_seg_size, 0
	.set _ZL19rocblas_scal_kernelIlLi256EDF16_DF16_fPKPDF16_EviT3_lT4_lT_li.uses_vcc, 1
	.set _ZL19rocblas_scal_kernelIlLi256EDF16_DF16_fPKPDF16_EviT3_lT4_lT_li.uses_flat_scratch, 0
	.set _ZL19rocblas_scal_kernelIlLi256EDF16_DF16_fPKPDF16_EviT3_lT4_lT_li.has_dyn_sized_stack, 0
	.set _ZL19rocblas_scal_kernelIlLi256EDF16_DF16_fPKPDF16_EviT3_lT4_lT_li.has_recursion, 0
	.set _ZL19rocblas_scal_kernelIlLi256EDF16_DF16_fPKPDF16_EviT3_lT4_lT_li.has_indirect_call, 0
	.section	.AMDGPU.csdata,"",@progbits
; Kernel info:
; codeLenInByte = 176
; TotalNumSgprs: 16
; NumVgprs: 4
; ScratchSize: 0
; MemoryBound: 0
; FloatMode: 240
; IeeeMode: 1
; LDSByteSize: 0 bytes/workgroup (compile time only)
; SGPRBlocks: 1
; VGPRBlocks: 0
; NumSGPRsForWavesPerEU: 16
; NumVGPRsForWavesPerEU: 4
; Occupancy: 10
; WaveLimiterHint : 1
; COMPUTE_PGM_RSRC2:SCRATCH_EN: 0
; COMPUTE_PGM_RSRC2:USER_SGPR: 6
; COMPUTE_PGM_RSRC2:TRAP_HANDLER: 0
; COMPUTE_PGM_RSRC2:TGID_X_EN: 1
; COMPUTE_PGM_RSRC2:TGID_Y_EN: 0
; COMPUTE_PGM_RSRC2:TGID_Z_EN: 1
; COMPUTE_PGM_RSRC2:TIDIG_COMP_CNT: 0
	.section	.text._ZL22rocblas_sscal_2_kernelILi256EffPKfPKPfEviT2_lT3_lli,"axG",@progbits,_ZL22rocblas_sscal_2_kernelILi256EffPKfPKPfEviT2_lT3_lli,comdat
	.globl	_ZL22rocblas_sscal_2_kernelILi256EffPKfPKPfEviT2_lT3_lli ; -- Begin function _ZL22rocblas_sscal_2_kernelILi256EffPKfPKPfEviT2_lT3_lli
	.p2align	8
	.type	_ZL22rocblas_sscal_2_kernelILi256EffPKfPKPfEviT2_lT3_lli,@function
_ZL22rocblas_sscal_2_kernelILi256EffPKfPKPfEviT2_lT3_lli: ; @_ZL22rocblas_sscal_2_kernelILi256EffPKfPKPfEviT2_lT3_lli
; %bb.0:
	s_load_dwordx4 s[8:11], s[4:5], 0x8
	s_waitcnt lgkmcnt(0)
	s_mul_i32 s1, s11, s7
	s_mul_hi_u32 s2, s10, s7
	s_add_i32 s3, s2, s1
	s_mul_i32 s2, s10, s7
	s_lshl_b64 s[2:3], s[2:3], 2
	s_add_u32 s2, s8, s2
	s_addc_u32 s3, s9, s3
	s_load_dword s2, s[2:3], 0x0
	s_waitcnt lgkmcnt(0)
	v_cmp_eq_f32_e64 s[8:9], s2, 1.0
	s_and_b64 vcc, exec, s[8:9]
	s_cbranch_vccnz .LBB52_5
; %bb.1:
	s_load_dwordx4 s[8:11], s[4:5], 0x18
	s_load_dword s3, s[4:5], 0x0
	s_mov_b32 s0, s7
	s_mov_b32 s1, 0
	s_lshl_b64 s[0:1], s[0:1], 3
	s_waitcnt lgkmcnt(0)
	s_add_u32 s0, s8, s0
	s_addc_u32 s1, s9, s1
	s_load_dwordx2 s[0:1], s[0:1], 0x0
	v_lshlrev_b32_e32 v0, 1, v0
	v_lshl_or_b32 v0, s6, 9, v0
	s_lshl_b64 s[4:5], s[10:11], 2
	v_or_b32_e32 v1, 1, v0
	s_waitcnt lgkmcnt(0)
	s_add_u32 s4, s0, s4
	s_addc_u32 s5, s1, s5
	v_cmp_gt_u32_e32 vcc, s3, v1
	s_and_saveexec_b64 s[0:1], vcc
	s_cbranch_execz .LBB52_3
; %bb.2:
	v_mov_b32_e32 v1, 0
	v_lshlrev_b64 v[1:2], 2, v[0:1]
	v_mov_b32_e32 v3, s5
	v_add_co_u32_e32 v1, vcc, s4, v1
	v_addc_co_u32_e32 v2, vcc, v3, v2, vcc
	flat_load_dwordx2 v[3:4], v[1:2]
	s_waitcnt vmcnt(0) lgkmcnt(0)
	v_mul_f32_e32 v3, s2, v3
	v_mul_f32_e32 v4, s2, v4
	flat_store_dwordx2 v[1:2], v[3:4]
.LBB52_3:
	s_or_b64 exec, exec, s[0:1]
	s_bitcmp1_b32 s3, 0
	s_cselect_b64 s[0:1], -1, 0
	s_add_i32 s3, s3, -1
	v_cmp_eq_u32_e32 vcc, s3, v0
	s_and_b64 s[0:1], s[0:1], vcc
	s_and_saveexec_b64 s[6:7], s[0:1]
	s_cbranch_execz .LBB52_5
; %bb.4:
	v_mov_b32_e32 v1, 0
	v_lshlrev_b64 v[0:1], 2, v[0:1]
	v_mov_b32_e32 v2, s5
	v_add_co_u32_e32 v0, vcc, s4, v0
	v_addc_co_u32_e32 v1, vcc, v2, v1, vcc
	flat_load_dword v2, v[0:1]
	s_waitcnt vmcnt(0) lgkmcnt(0)
	v_mul_f32_e32 v2, s2, v2
	flat_store_dword v[0:1], v2
.LBB52_5:
	s_endpgm
	.section	.rodata,"a",@progbits
	.p2align	6, 0x0
	.amdhsa_kernel _ZL22rocblas_sscal_2_kernelILi256EffPKfPKPfEviT2_lT3_lli
		.amdhsa_group_segment_fixed_size 0
		.amdhsa_private_segment_fixed_size 0
		.amdhsa_kernarg_size 52
		.amdhsa_user_sgpr_count 6
		.amdhsa_user_sgpr_private_segment_buffer 1
		.amdhsa_user_sgpr_dispatch_ptr 0
		.amdhsa_user_sgpr_queue_ptr 0
		.amdhsa_user_sgpr_kernarg_segment_ptr 1
		.amdhsa_user_sgpr_dispatch_id 0
		.amdhsa_user_sgpr_flat_scratch_init 0
		.amdhsa_user_sgpr_private_segment_size 0
		.amdhsa_uses_dynamic_stack 0
		.amdhsa_system_sgpr_private_segment_wavefront_offset 0
		.amdhsa_system_sgpr_workgroup_id_x 1
		.amdhsa_system_sgpr_workgroup_id_y 0
		.amdhsa_system_sgpr_workgroup_id_z 1
		.amdhsa_system_sgpr_workgroup_info 0
		.amdhsa_system_vgpr_workitem_id 0
		.amdhsa_next_free_vgpr 5
		.amdhsa_next_free_sgpr 12
		.amdhsa_reserve_vcc 1
		.amdhsa_reserve_flat_scratch 0
		.amdhsa_float_round_mode_32 0
		.amdhsa_float_round_mode_16_64 0
		.amdhsa_float_denorm_mode_32 3
		.amdhsa_float_denorm_mode_16_64 3
		.amdhsa_dx10_clamp 1
		.amdhsa_ieee_mode 1
		.amdhsa_fp16_overflow 0
		.amdhsa_exception_fp_ieee_invalid_op 0
		.amdhsa_exception_fp_denorm_src 0
		.amdhsa_exception_fp_ieee_div_zero 0
		.amdhsa_exception_fp_ieee_overflow 0
		.amdhsa_exception_fp_ieee_underflow 0
		.amdhsa_exception_fp_ieee_inexact 0
		.amdhsa_exception_int_div_zero 0
	.end_amdhsa_kernel
	.section	.text._ZL22rocblas_sscal_2_kernelILi256EffPKfPKPfEviT2_lT3_lli,"axG",@progbits,_ZL22rocblas_sscal_2_kernelILi256EffPKfPKPfEviT2_lT3_lli,comdat
.Lfunc_end52:
	.size	_ZL22rocblas_sscal_2_kernelILi256EffPKfPKPfEviT2_lT3_lli, .Lfunc_end52-_ZL22rocblas_sscal_2_kernelILi256EffPKfPKPfEviT2_lT3_lli
                                        ; -- End function
	.set _ZL22rocblas_sscal_2_kernelILi256EffPKfPKPfEviT2_lT3_lli.num_vgpr, 5
	.set _ZL22rocblas_sscal_2_kernelILi256EffPKfPKPfEviT2_lT3_lli.num_agpr, 0
	.set _ZL22rocblas_sscal_2_kernelILi256EffPKfPKPfEviT2_lT3_lli.numbered_sgpr, 12
	.set _ZL22rocblas_sscal_2_kernelILi256EffPKfPKPfEviT2_lT3_lli.num_named_barrier, 0
	.set _ZL22rocblas_sscal_2_kernelILi256EffPKfPKPfEviT2_lT3_lli.private_seg_size, 0
	.set _ZL22rocblas_sscal_2_kernelILi256EffPKfPKPfEviT2_lT3_lli.uses_vcc, 1
	.set _ZL22rocblas_sscal_2_kernelILi256EffPKfPKPfEviT2_lT3_lli.uses_flat_scratch, 0
	.set _ZL22rocblas_sscal_2_kernelILi256EffPKfPKPfEviT2_lT3_lli.has_dyn_sized_stack, 0
	.set _ZL22rocblas_sscal_2_kernelILi256EffPKfPKPfEviT2_lT3_lli.has_recursion, 0
	.set _ZL22rocblas_sscal_2_kernelILi256EffPKfPKPfEviT2_lT3_lli.has_indirect_call, 0
	.section	.AMDGPU.csdata,"",@progbits
; Kernel info:
; codeLenInByte = 296
; TotalNumSgprs: 16
; NumVgprs: 5
; ScratchSize: 0
; MemoryBound: 0
; FloatMode: 240
; IeeeMode: 1
; LDSByteSize: 0 bytes/workgroup (compile time only)
; SGPRBlocks: 1
; VGPRBlocks: 1
; NumSGPRsForWavesPerEU: 16
; NumVGPRsForWavesPerEU: 5
; Occupancy: 10
; WaveLimiterHint : 1
; COMPUTE_PGM_RSRC2:SCRATCH_EN: 0
; COMPUTE_PGM_RSRC2:USER_SGPR: 6
; COMPUTE_PGM_RSRC2:TRAP_HANDLER: 0
; COMPUTE_PGM_RSRC2:TGID_X_EN: 1
; COMPUTE_PGM_RSRC2:TGID_Y_EN: 0
; COMPUTE_PGM_RSRC2:TGID_Z_EN: 1
; COMPUTE_PGM_RSRC2:TIDIG_COMP_CNT: 0
	.section	.text._ZL22rocblas_sscal_2_kernelILi256EfffPKPfEviT2_lT3_lli,"axG",@progbits,_ZL22rocblas_sscal_2_kernelILi256EfffPKPfEviT2_lT3_lli,comdat
	.globl	_ZL22rocblas_sscal_2_kernelILi256EfffPKPfEviT2_lT3_lli ; -- Begin function _ZL22rocblas_sscal_2_kernelILi256EfffPKPfEviT2_lT3_lli
	.p2align	8
	.type	_ZL22rocblas_sscal_2_kernelILi256EfffPKPfEviT2_lT3_lli,@function
_ZL22rocblas_sscal_2_kernelILi256EfffPKPfEviT2_lT3_lli: ; @_ZL22rocblas_sscal_2_kernelILi256EfffPKPfEviT2_lT3_lli
; %bb.0:
	s_load_dwordx2 s[0:1], s[4:5], 0x0
	s_waitcnt lgkmcnt(0)
	v_cmp_eq_f32_e64 s[8:9], s1, 1.0
	s_and_b64 vcc, exec, s[8:9]
	s_cbranch_vccnz .LBB53_5
; %bb.1:
	s_load_dwordx4 s[8:11], s[4:5], 0x10
	s_mov_b32 s2, s7
	s_mov_b32 s3, 0
	s_lshl_b64 s[2:3], s[2:3], 3
	v_lshlrev_b32_e32 v0, 1, v0
	s_waitcnt lgkmcnt(0)
	s_add_u32 s2, s8, s2
	s_addc_u32 s3, s9, s3
	s_load_dwordx2 s[2:3], s[2:3], 0x0
	v_lshl_or_b32 v0, s6, 9, v0
	s_lshl_b64 s[4:5], s[10:11], 2
	v_or_b32_e32 v1, 1, v0
	v_cmp_gt_u32_e32 vcc, s0, v1
	s_waitcnt lgkmcnt(0)
	s_add_u32 s4, s2, s4
	s_addc_u32 s5, s3, s5
	s_and_saveexec_b64 s[2:3], vcc
	s_cbranch_execz .LBB53_3
; %bb.2:
	v_mov_b32_e32 v1, 0
	v_lshlrev_b64 v[1:2], 2, v[0:1]
	v_mov_b32_e32 v3, s5
	v_add_co_u32_e32 v1, vcc, s4, v1
	v_addc_co_u32_e32 v2, vcc, v3, v2, vcc
	flat_load_dwordx2 v[3:4], v[1:2]
	s_waitcnt vmcnt(0) lgkmcnt(0)
	v_mul_f32_e32 v3, s1, v3
	v_mul_f32_e32 v4, s1, v4
	flat_store_dwordx2 v[1:2], v[3:4]
.LBB53_3:
	s_or_b64 exec, exec, s[2:3]
	s_bitcmp1_b32 s0, 0
	s_cselect_b64 s[2:3], -1, 0
	s_add_i32 s0, s0, -1
	v_cmp_eq_u32_e32 vcc, s0, v0
	s_and_b64 s[2:3], s[2:3], vcc
	s_and_saveexec_b64 s[6:7], s[2:3]
	s_cbranch_execz .LBB53_5
; %bb.4:
	v_mov_b32_e32 v1, 0
	v_lshlrev_b64 v[0:1], 2, v[0:1]
	v_mov_b32_e32 v2, s5
	v_add_co_u32_e32 v0, vcc, s4, v0
	v_addc_co_u32_e32 v1, vcc, v2, v1, vcc
	flat_load_dword v2, v[0:1]
	s_waitcnt vmcnt(0) lgkmcnt(0)
	v_mul_f32_e32 v2, s1, v2
	flat_store_dword v[0:1], v2
.LBB53_5:
	s_endpgm
	.section	.rodata,"a",@progbits
	.p2align	6, 0x0
	.amdhsa_kernel _ZL22rocblas_sscal_2_kernelILi256EfffPKPfEviT2_lT3_lli
		.amdhsa_group_segment_fixed_size 0
		.amdhsa_private_segment_fixed_size 0
		.amdhsa_kernarg_size 44
		.amdhsa_user_sgpr_count 6
		.amdhsa_user_sgpr_private_segment_buffer 1
		.amdhsa_user_sgpr_dispatch_ptr 0
		.amdhsa_user_sgpr_queue_ptr 0
		.amdhsa_user_sgpr_kernarg_segment_ptr 1
		.amdhsa_user_sgpr_dispatch_id 0
		.amdhsa_user_sgpr_flat_scratch_init 0
		.amdhsa_user_sgpr_private_segment_size 0
		.amdhsa_uses_dynamic_stack 0
		.amdhsa_system_sgpr_private_segment_wavefront_offset 0
		.amdhsa_system_sgpr_workgroup_id_x 1
		.amdhsa_system_sgpr_workgroup_id_y 0
		.amdhsa_system_sgpr_workgroup_id_z 1
		.amdhsa_system_sgpr_workgroup_info 0
		.amdhsa_system_vgpr_workitem_id 0
		.amdhsa_next_free_vgpr 5
		.amdhsa_next_free_sgpr 12
		.amdhsa_reserve_vcc 1
		.amdhsa_reserve_flat_scratch 0
		.amdhsa_float_round_mode_32 0
		.amdhsa_float_round_mode_16_64 0
		.amdhsa_float_denorm_mode_32 3
		.amdhsa_float_denorm_mode_16_64 3
		.amdhsa_dx10_clamp 1
		.amdhsa_ieee_mode 1
		.amdhsa_fp16_overflow 0
		.amdhsa_exception_fp_ieee_invalid_op 0
		.amdhsa_exception_fp_denorm_src 0
		.amdhsa_exception_fp_ieee_div_zero 0
		.amdhsa_exception_fp_ieee_overflow 0
		.amdhsa_exception_fp_ieee_underflow 0
		.amdhsa_exception_fp_ieee_inexact 0
		.amdhsa_exception_int_div_zero 0
	.end_amdhsa_kernel
	.section	.text._ZL22rocblas_sscal_2_kernelILi256EfffPKPfEviT2_lT3_lli,"axG",@progbits,_ZL22rocblas_sscal_2_kernelILi256EfffPKPfEviT2_lT3_lli,comdat
.Lfunc_end53:
	.size	_ZL22rocblas_sscal_2_kernelILi256EfffPKPfEviT2_lT3_lli, .Lfunc_end53-_ZL22rocblas_sscal_2_kernelILi256EfffPKPfEviT2_lT3_lli
                                        ; -- End function
	.set _ZL22rocblas_sscal_2_kernelILi256EfffPKPfEviT2_lT3_lli.num_vgpr, 5
	.set _ZL22rocblas_sscal_2_kernelILi256EfffPKPfEviT2_lT3_lli.num_agpr, 0
	.set _ZL22rocblas_sscal_2_kernelILi256EfffPKPfEviT2_lT3_lli.numbered_sgpr, 12
	.set _ZL22rocblas_sscal_2_kernelILi256EfffPKPfEviT2_lT3_lli.num_named_barrier, 0
	.set _ZL22rocblas_sscal_2_kernelILi256EfffPKPfEviT2_lT3_lli.private_seg_size, 0
	.set _ZL22rocblas_sscal_2_kernelILi256EfffPKPfEviT2_lT3_lli.uses_vcc, 1
	.set _ZL22rocblas_sscal_2_kernelILi256EfffPKPfEviT2_lT3_lli.uses_flat_scratch, 0
	.set _ZL22rocblas_sscal_2_kernelILi256EfffPKPfEviT2_lT3_lli.has_dyn_sized_stack, 0
	.set _ZL22rocblas_sscal_2_kernelILi256EfffPKPfEviT2_lT3_lli.has_recursion, 0
	.set _ZL22rocblas_sscal_2_kernelILi256EfffPKPfEviT2_lT3_lli.has_indirect_call, 0
	.section	.AMDGPU.csdata,"",@progbits
; Kernel info:
; codeLenInByte = 248
; TotalNumSgprs: 16
; NumVgprs: 5
; ScratchSize: 0
; MemoryBound: 0
; FloatMode: 240
; IeeeMode: 1
; LDSByteSize: 0 bytes/workgroup (compile time only)
; SGPRBlocks: 1
; VGPRBlocks: 1
; NumSGPRsForWavesPerEU: 16
; NumVGPRsForWavesPerEU: 5
; Occupancy: 10
; WaveLimiterHint : 1
; COMPUTE_PGM_RSRC2:SCRATCH_EN: 0
; COMPUTE_PGM_RSRC2:USER_SGPR: 6
; COMPUTE_PGM_RSRC2:TRAP_HANDLER: 0
; COMPUTE_PGM_RSRC2:TGID_X_EN: 1
; COMPUTE_PGM_RSRC2:TGID_Y_EN: 0
; COMPUTE_PGM_RSRC2:TGID_Z_EN: 1
; COMPUTE_PGM_RSRC2:TIDIG_COMP_CNT: 0
	.section	.text._ZL19rocblas_scal_kernelIiLi256EffPKfPKPfEviT3_lT4_lT_li,"axG",@progbits,_ZL19rocblas_scal_kernelIiLi256EffPKfPKPfEviT3_lT4_lT_li,comdat
	.globl	_ZL19rocblas_scal_kernelIiLi256EffPKfPKPfEviT3_lT4_lT_li ; -- Begin function _ZL19rocblas_scal_kernelIiLi256EffPKfPKPfEviT3_lT4_lT_li
	.p2align	8
	.type	_ZL19rocblas_scal_kernelIiLi256EffPKfPKPfEviT3_lT4_lT_li,@function
_ZL19rocblas_scal_kernelIiLi256EffPKfPKPfEviT3_lT4_lT_li: ; @_ZL19rocblas_scal_kernelIiLi256EffPKfPKPfEviT3_lT4_lT_li
; %bb.0:
	s_load_dwordx8 s[8:15], s[4:5], 0x8
	v_lshl_or_b32 v0, s6, 8, v0
	s_mov_b32 s0, s7
	s_waitcnt lgkmcnt(0)
	s_mul_i32 s1, s11, s7
	s_mul_hi_u32 s2, s10, s7
	s_add_i32 s3, s2, s1
	s_mul_i32 s2, s10, s7
	s_lshl_b64 s[2:3], s[2:3], 2
	s_add_u32 s8, s8, s2
	s_addc_u32 s9, s9, s3
	s_load_dword s2, s[8:9], 0x0
	s_load_dword s1, s[4:5], 0x0
	s_waitcnt lgkmcnt(0)
	v_cmp_neq_f32_e64 s[6:7], s2, 1.0
	v_cmp_gt_u32_e32 vcc, s1, v0
	s_and_b64 s[6:7], vcc, s[6:7]
	s_and_saveexec_b64 s[8:9], s[6:7]
	s_cbranch_execz .LBB54_2
; %bb.1:
	s_load_dword s3, s[4:5], 0x28
	s_mov_b32 s1, 0
	s_lshl_b64 s[0:1], s[0:1], 3
	s_waitcnt lgkmcnt(0)
	s_ashr_i32 s6, s3, 31
	v_mad_u64_u32 v[1:2], s[4:5], s3, v0, 0
	s_add_u32 s0, s12, s0
	s_addc_u32 s1, s13, s1
	s_load_dwordx2 s[0:1], s[0:1], 0x0
	v_mad_u64_u32 v[2:3], s[4:5], s6, v0, v[2:3]
	s_lshl_b64 s[4:5], s[14:15], 2
	s_waitcnt lgkmcnt(0)
	s_add_u32 s0, s0, s4
	v_lshlrev_b64 v[0:1], 2, v[1:2]
	s_addc_u32 s1, s1, s5
	v_mov_b32_e32 v2, s1
	v_add_co_u32_e32 v0, vcc, s0, v0
	v_addc_co_u32_e32 v1, vcc, v2, v1, vcc
	flat_load_dword v2, v[0:1]
	s_waitcnt vmcnt(0) lgkmcnt(0)
	v_mul_f32_e32 v2, s2, v2
	flat_store_dword v[0:1], v2
.LBB54_2:
	s_endpgm
	.section	.rodata,"a",@progbits
	.p2align	6, 0x0
	.amdhsa_kernel _ZL19rocblas_scal_kernelIiLi256EffPKfPKPfEviT3_lT4_lT_li
		.amdhsa_group_segment_fixed_size 0
		.amdhsa_private_segment_fixed_size 0
		.amdhsa_kernarg_size 60
		.amdhsa_user_sgpr_count 6
		.amdhsa_user_sgpr_private_segment_buffer 1
		.amdhsa_user_sgpr_dispatch_ptr 0
		.amdhsa_user_sgpr_queue_ptr 0
		.amdhsa_user_sgpr_kernarg_segment_ptr 1
		.amdhsa_user_sgpr_dispatch_id 0
		.amdhsa_user_sgpr_flat_scratch_init 0
		.amdhsa_user_sgpr_private_segment_size 0
		.amdhsa_uses_dynamic_stack 0
		.amdhsa_system_sgpr_private_segment_wavefront_offset 0
		.amdhsa_system_sgpr_workgroup_id_x 1
		.amdhsa_system_sgpr_workgroup_id_y 0
		.amdhsa_system_sgpr_workgroup_id_z 1
		.amdhsa_system_sgpr_workgroup_info 0
		.amdhsa_system_vgpr_workitem_id 0
		.amdhsa_next_free_vgpr 4
		.amdhsa_next_free_sgpr 16
		.amdhsa_reserve_vcc 1
		.amdhsa_reserve_flat_scratch 0
		.amdhsa_float_round_mode_32 0
		.amdhsa_float_round_mode_16_64 0
		.amdhsa_float_denorm_mode_32 3
		.amdhsa_float_denorm_mode_16_64 3
		.amdhsa_dx10_clamp 1
		.amdhsa_ieee_mode 1
		.amdhsa_fp16_overflow 0
		.amdhsa_exception_fp_ieee_invalid_op 0
		.amdhsa_exception_fp_denorm_src 0
		.amdhsa_exception_fp_ieee_div_zero 0
		.amdhsa_exception_fp_ieee_overflow 0
		.amdhsa_exception_fp_ieee_underflow 0
		.amdhsa_exception_fp_ieee_inexact 0
		.amdhsa_exception_int_div_zero 0
	.end_amdhsa_kernel
	.section	.text._ZL19rocblas_scal_kernelIiLi256EffPKfPKPfEviT3_lT4_lT_li,"axG",@progbits,_ZL19rocblas_scal_kernelIiLi256EffPKfPKPfEviT3_lT4_lT_li,comdat
.Lfunc_end54:
	.size	_ZL19rocblas_scal_kernelIiLi256EffPKfPKPfEviT3_lT4_lT_li, .Lfunc_end54-_ZL19rocblas_scal_kernelIiLi256EffPKfPKPfEviT3_lT4_lT_li
                                        ; -- End function
	.set _ZL19rocblas_scal_kernelIiLi256EffPKfPKPfEviT3_lT4_lT_li.num_vgpr, 4
	.set _ZL19rocblas_scal_kernelIiLi256EffPKfPKPfEviT3_lT4_lT_li.num_agpr, 0
	.set _ZL19rocblas_scal_kernelIiLi256EffPKfPKPfEviT3_lT4_lT_li.numbered_sgpr, 16
	.set _ZL19rocblas_scal_kernelIiLi256EffPKfPKPfEviT3_lT4_lT_li.num_named_barrier, 0
	.set _ZL19rocblas_scal_kernelIiLi256EffPKfPKPfEviT3_lT4_lT_li.private_seg_size, 0
	.set _ZL19rocblas_scal_kernelIiLi256EffPKfPKPfEviT3_lT4_lT_li.uses_vcc, 1
	.set _ZL19rocblas_scal_kernelIiLi256EffPKfPKPfEviT3_lT4_lT_li.uses_flat_scratch, 0
	.set _ZL19rocblas_scal_kernelIiLi256EffPKfPKPfEviT3_lT4_lT_li.has_dyn_sized_stack, 0
	.set _ZL19rocblas_scal_kernelIiLi256EffPKfPKPfEviT3_lT4_lT_li.has_recursion, 0
	.set _ZL19rocblas_scal_kernelIiLi256EffPKfPKPfEviT3_lT4_lT_li.has_indirect_call, 0
	.section	.AMDGPU.csdata,"",@progbits
; Kernel info:
; codeLenInByte = 216
; TotalNumSgprs: 20
; NumVgprs: 4
; ScratchSize: 0
; MemoryBound: 0
; FloatMode: 240
; IeeeMode: 1
; LDSByteSize: 0 bytes/workgroup (compile time only)
; SGPRBlocks: 2
; VGPRBlocks: 0
; NumSGPRsForWavesPerEU: 20
; NumVGPRsForWavesPerEU: 4
; Occupancy: 10
; WaveLimiterHint : 1
; COMPUTE_PGM_RSRC2:SCRATCH_EN: 0
; COMPUTE_PGM_RSRC2:USER_SGPR: 6
; COMPUTE_PGM_RSRC2:TRAP_HANDLER: 0
; COMPUTE_PGM_RSRC2:TGID_X_EN: 1
; COMPUTE_PGM_RSRC2:TGID_Y_EN: 0
; COMPUTE_PGM_RSRC2:TGID_Z_EN: 1
; COMPUTE_PGM_RSRC2:TIDIG_COMP_CNT: 0
	.section	.text._ZL19rocblas_scal_kernelIiLi256EfffPKPfEviT3_lT4_lT_li,"axG",@progbits,_ZL19rocblas_scal_kernelIiLi256EfffPKPfEviT3_lT4_lT_li,comdat
	.globl	_ZL19rocblas_scal_kernelIiLi256EfffPKPfEviT3_lT4_lT_li ; -- Begin function _ZL19rocblas_scal_kernelIiLi256EfffPKPfEviT3_lT4_lT_li
	.p2align	8
	.type	_ZL19rocblas_scal_kernelIiLi256EfffPKPfEviT3_lT4_lT_li,@function
_ZL19rocblas_scal_kernelIiLi256EfffPKPfEviT3_lT4_lT_li: ; @_ZL19rocblas_scal_kernelIiLi256EfffPKPfEviT3_lT4_lT_li
; %bb.0:
	s_load_dwordx2 s[0:1], s[4:5], 0x0
	v_lshl_or_b32 v0, s6, 8, v0
	s_mov_b32 s2, s7
	s_waitcnt lgkmcnt(0)
	v_cmp_neq_f32_e64 s[6:7], s1, 1.0
	v_cmp_gt_u32_e32 vcc, s0, v0
	s_and_b64 s[6:7], vcc, s[6:7]
	s_and_saveexec_b64 s[8:9], s[6:7]
	s_cbranch_execz .LBB55_2
; %bb.1:
	s_load_dword s0, s[4:5], 0x20
	s_load_dwordx4 s[8:11], s[4:5], 0x10
	s_mov_b32 s3, 0
	s_lshl_b64 s[2:3], s[2:3], 3
	s_waitcnt lgkmcnt(0)
	s_ashr_i32 s6, s0, 31
	v_mad_u64_u32 v[1:2], s[4:5], s0, v0, 0
	s_add_u32 s2, s8, s2
	s_addc_u32 s3, s9, s3
	s_load_dwordx2 s[2:3], s[2:3], 0x0
	v_mad_u64_u32 v[2:3], s[4:5], s6, v0, v[2:3]
	s_lshl_b64 s[4:5], s[10:11], 2
	s_waitcnt lgkmcnt(0)
	s_add_u32 s0, s2, s4
	v_lshlrev_b64 v[0:1], 2, v[1:2]
	s_addc_u32 s2, s3, s5
	v_mov_b32_e32 v2, s2
	v_add_co_u32_e32 v0, vcc, s0, v0
	v_addc_co_u32_e32 v1, vcc, v2, v1, vcc
	flat_load_dword v2, v[0:1]
	s_waitcnt vmcnt(0) lgkmcnt(0)
	v_mul_f32_e32 v2, s1, v2
	flat_store_dword v[0:1], v2
.LBB55_2:
	s_endpgm
	.section	.rodata,"a",@progbits
	.p2align	6, 0x0
	.amdhsa_kernel _ZL19rocblas_scal_kernelIiLi256EfffPKPfEviT3_lT4_lT_li
		.amdhsa_group_segment_fixed_size 0
		.amdhsa_private_segment_fixed_size 0
		.amdhsa_kernarg_size 52
		.amdhsa_user_sgpr_count 6
		.amdhsa_user_sgpr_private_segment_buffer 1
		.amdhsa_user_sgpr_dispatch_ptr 0
		.amdhsa_user_sgpr_queue_ptr 0
		.amdhsa_user_sgpr_kernarg_segment_ptr 1
		.amdhsa_user_sgpr_dispatch_id 0
		.amdhsa_user_sgpr_flat_scratch_init 0
		.amdhsa_user_sgpr_private_segment_size 0
		.amdhsa_uses_dynamic_stack 0
		.amdhsa_system_sgpr_private_segment_wavefront_offset 0
		.amdhsa_system_sgpr_workgroup_id_x 1
		.amdhsa_system_sgpr_workgroup_id_y 0
		.amdhsa_system_sgpr_workgroup_id_z 1
		.amdhsa_system_sgpr_workgroup_info 0
		.amdhsa_system_vgpr_workitem_id 0
		.amdhsa_next_free_vgpr 4
		.amdhsa_next_free_sgpr 12
		.amdhsa_reserve_vcc 1
		.amdhsa_reserve_flat_scratch 0
		.amdhsa_float_round_mode_32 0
		.amdhsa_float_round_mode_16_64 0
		.amdhsa_float_denorm_mode_32 3
		.amdhsa_float_denorm_mode_16_64 3
		.amdhsa_dx10_clamp 1
		.amdhsa_ieee_mode 1
		.amdhsa_fp16_overflow 0
		.amdhsa_exception_fp_ieee_invalid_op 0
		.amdhsa_exception_fp_denorm_src 0
		.amdhsa_exception_fp_ieee_div_zero 0
		.amdhsa_exception_fp_ieee_overflow 0
		.amdhsa_exception_fp_ieee_underflow 0
		.amdhsa_exception_fp_ieee_inexact 0
		.amdhsa_exception_int_div_zero 0
	.end_amdhsa_kernel
	.section	.text._ZL19rocblas_scal_kernelIiLi256EfffPKPfEviT3_lT4_lT_li,"axG",@progbits,_ZL19rocblas_scal_kernelIiLi256EfffPKPfEviT3_lT4_lT_li,comdat
.Lfunc_end55:
	.size	_ZL19rocblas_scal_kernelIiLi256EfffPKPfEviT3_lT4_lT_li, .Lfunc_end55-_ZL19rocblas_scal_kernelIiLi256EfffPKPfEviT3_lT4_lT_li
                                        ; -- End function
	.set _ZL19rocblas_scal_kernelIiLi256EfffPKPfEviT3_lT4_lT_li.num_vgpr, 4
	.set _ZL19rocblas_scal_kernelIiLi256EfffPKPfEviT3_lT4_lT_li.num_agpr, 0
	.set _ZL19rocblas_scal_kernelIiLi256EfffPKPfEviT3_lT4_lT_li.numbered_sgpr, 12
	.set _ZL19rocblas_scal_kernelIiLi256EfffPKPfEviT3_lT4_lT_li.num_named_barrier, 0
	.set _ZL19rocblas_scal_kernelIiLi256EfffPKPfEviT3_lT4_lT_li.private_seg_size, 0
	.set _ZL19rocblas_scal_kernelIiLi256EfffPKPfEviT3_lT4_lT_li.uses_vcc, 1
	.set _ZL19rocblas_scal_kernelIiLi256EfffPKPfEviT3_lT4_lT_li.uses_flat_scratch, 0
	.set _ZL19rocblas_scal_kernelIiLi256EfffPKPfEviT3_lT4_lT_li.has_dyn_sized_stack, 0
	.set _ZL19rocblas_scal_kernelIiLi256EfffPKPfEviT3_lT4_lT_li.has_recursion, 0
	.set _ZL19rocblas_scal_kernelIiLi256EfffPKPfEviT3_lT4_lT_li.has_indirect_call, 0
	.section	.AMDGPU.csdata,"",@progbits
; Kernel info:
; codeLenInByte = 176
; TotalNumSgprs: 16
; NumVgprs: 4
; ScratchSize: 0
; MemoryBound: 0
; FloatMode: 240
; IeeeMode: 1
; LDSByteSize: 0 bytes/workgroup (compile time only)
; SGPRBlocks: 1
; VGPRBlocks: 0
; NumSGPRsForWavesPerEU: 16
; NumVGPRsForWavesPerEU: 4
; Occupancy: 10
; WaveLimiterHint : 1
; COMPUTE_PGM_RSRC2:SCRATCH_EN: 0
; COMPUTE_PGM_RSRC2:USER_SGPR: 6
; COMPUTE_PGM_RSRC2:TRAP_HANDLER: 0
; COMPUTE_PGM_RSRC2:TGID_X_EN: 1
; COMPUTE_PGM_RSRC2:TGID_Y_EN: 0
; COMPUTE_PGM_RSRC2:TGID_Z_EN: 1
; COMPUTE_PGM_RSRC2:TIDIG_COMP_CNT: 0
	.section	.text._ZL19rocblas_scal_kernelIlLi256EffPKfPKPfEviT3_lT4_lT_li,"axG",@progbits,_ZL19rocblas_scal_kernelIlLi256EffPKfPKPfEviT3_lT4_lT_li,comdat
	.globl	_ZL19rocblas_scal_kernelIlLi256EffPKfPKPfEviT3_lT4_lT_li ; -- Begin function _ZL19rocblas_scal_kernelIlLi256EffPKfPKPfEviT3_lT4_lT_li
	.p2align	8
	.type	_ZL19rocblas_scal_kernelIlLi256EffPKfPKPfEviT3_lT4_lT_li,@function
_ZL19rocblas_scal_kernelIlLi256EffPKfPKPfEviT3_lT4_lT_li: ; @_ZL19rocblas_scal_kernelIlLi256EffPKfPKPfEviT3_lT4_lT_li
; %bb.0:
	s_load_dwordx8 s[8:15], s[4:5], 0x8
	v_lshl_or_b32 v0, s6, 8, v0
	s_mov_b32 s0, s7
	s_waitcnt lgkmcnt(0)
	s_mul_i32 s1, s11, s7
	s_mul_hi_u32 s2, s10, s7
	s_add_i32 s3, s2, s1
	s_mul_i32 s2, s10, s7
	s_lshl_b64 s[2:3], s[2:3], 2
	s_add_u32 s8, s8, s2
	s_addc_u32 s9, s9, s3
	s_load_dword s2, s[8:9], 0x0
	s_load_dword s1, s[4:5], 0x0
	s_waitcnt lgkmcnt(0)
	v_cmp_neq_f32_e64 s[6:7], s2, 1.0
	v_cmp_gt_u32_e32 vcc, s1, v0
	s_and_b64 s[6:7], vcc, s[6:7]
	s_and_saveexec_b64 s[8:9], s[6:7]
	s_cbranch_execz .LBB56_2
; %bb.1:
	s_load_dwordx2 s[4:5], s[4:5], 0x28
	s_mov_b32 s1, 0
	s_lshl_b64 s[0:1], s[0:1], 3
	s_add_u32 s0, s12, s0
	s_addc_u32 s1, s13, s1
	s_waitcnt lgkmcnt(0)
	v_mad_u64_u32 v[1:2], s[6:7], s4, v0, 0
	s_load_dwordx2 s[0:1], s[0:1], 0x0
	v_mad_u64_u32 v[2:3], s[4:5], s5, v0, v[2:3]
	s_lshl_b64 s[4:5], s[14:15], 2
	s_waitcnt lgkmcnt(0)
	s_add_u32 s0, s0, s4
	v_lshlrev_b64 v[0:1], 2, v[1:2]
	s_addc_u32 s1, s1, s5
	v_mov_b32_e32 v2, s1
	v_add_co_u32_e32 v0, vcc, s0, v0
	v_addc_co_u32_e32 v1, vcc, v2, v1, vcc
	flat_load_dword v2, v[0:1]
	s_waitcnt vmcnt(0) lgkmcnt(0)
	v_mul_f32_e32 v2, s2, v2
	flat_store_dword v[0:1], v2
.LBB56_2:
	s_endpgm
	.section	.rodata,"a",@progbits
	.p2align	6, 0x0
	.amdhsa_kernel _ZL19rocblas_scal_kernelIlLi256EffPKfPKPfEviT3_lT4_lT_li
		.amdhsa_group_segment_fixed_size 0
		.amdhsa_private_segment_fixed_size 0
		.amdhsa_kernarg_size 60
		.amdhsa_user_sgpr_count 6
		.amdhsa_user_sgpr_private_segment_buffer 1
		.amdhsa_user_sgpr_dispatch_ptr 0
		.amdhsa_user_sgpr_queue_ptr 0
		.amdhsa_user_sgpr_kernarg_segment_ptr 1
		.amdhsa_user_sgpr_dispatch_id 0
		.amdhsa_user_sgpr_flat_scratch_init 0
		.amdhsa_user_sgpr_private_segment_size 0
		.amdhsa_uses_dynamic_stack 0
		.amdhsa_system_sgpr_private_segment_wavefront_offset 0
		.amdhsa_system_sgpr_workgroup_id_x 1
		.amdhsa_system_sgpr_workgroup_id_y 0
		.amdhsa_system_sgpr_workgroup_id_z 1
		.amdhsa_system_sgpr_workgroup_info 0
		.amdhsa_system_vgpr_workitem_id 0
		.amdhsa_next_free_vgpr 4
		.amdhsa_next_free_sgpr 16
		.amdhsa_reserve_vcc 1
		.amdhsa_reserve_flat_scratch 0
		.amdhsa_float_round_mode_32 0
		.amdhsa_float_round_mode_16_64 0
		.amdhsa_float_denorm_mode_32 3
		.amdhsa_float_denorm_mode_16_64 3
		.amdhsa_dx10_clamp 1
		.amdhsa_ieee_mode 1
		.amdhsa_fp16_overflow 0
		.amdhsa_exception_fp_ieee_invalid_op 0
		.amdhsa_exception_fp_denorm_src 0
		.amdhsa_exception_fp_ieee_div_zero 0
		.amdhsa_exception_fp_ieee_overflow 0
		.amdhsa_exception_fp_ieee_underflow 0
		.amdhsa_exception_fp_ieee_inexact 0
		.amdhsa_exception_int_div_zero 0
	.end_amdhsa_kernel
	.section	.text._ZL19rocblas_scal_kernelIlLi256EffPKfPKPfEviT3_lT4_lT_li,"axG",@progbits,_ZL19rocblas_scal_kernelIlLi256EffPKfPKPfEviT3_lT4_lT_li,comdat
.Lfunc_end56:
	.size	_ZL19rocblas_scal_kernelIlLi256EffPKfPKPfEviT3_lT4_lT_li, .Lfunc_end56-_ZL19rocblas_scal_kernelIlLi256EffPKfPKPfEviT3_lT4_lT_li
                                        ; -- End function
	.set _ZL19rocblas_scal_kernelIlLi256EffPKfPKPfEviT3_lT4_lT_li.num_vgpr, 4
	.set _ZL19rocblas_scal_kernelIlLi256EffPKfPKPfEviT3_lT4_lT_li.num_agpr, 0
	.set _ZL19rocblas_scal_kernelIlLi256EffPKfPKPfEviT3_lT4_lT_li.numbered_sgpr, 16
	.set _ZL19rocblas_scal_kernelIlLi256EffPKfPKPfEviT3_lT4_lT_li.num_named_barrier, 0
	.set _ZL19rocblas_scal_kernelIlLi256EffPKfPKPfEviT3_lT4_lT_li.private_seg_size, 0
	.set _ZL19rocblas_scal_kernelIlLi256EffPKfPKPfEviT3_lT4_lT_li.uses_vcc, 1
	.set _ZL19rocblas_scal_kernelIlLi256EffPKfPKPfEviT3_lT4_lT_li.uses_flat_scratch, 0
	.set _ZL19rocblas_scal_kernelIlLi256EffPKfPKPfEviT3_lT4_lT_li.has_dyn_sized_stack, 0
	.set _ZL19rocblas_scal_kernelIlLi256EffPKfPKPfEviT3_lT4_lT_li.has_recursion, 0
	.set _ZL19rocblas_scal_kernelIlLi256EffPKfPKPfEviT3_lT4_lT_li.has_indirect_call, 0
	.section	.AMDGPU.csdata,"",@progbits
; Kernel info:
; codeLenInByte = 212
; TotalNumSgprs: 20
; NumVgprs: 4
; ScratchSize: 0
; MemoryBound: 0
; FloatMode: 240
; IeeeMode: 1
; LDSByteSize: 0 bytes/workgroup (compile time only)
; SGPRBlocks: 2
; VGPRBlocks: 0
; NumSGPRsForWavesPerEU: 20
; NumVGPRsForWavesPerEU: 4
; Occupancy: 10
; WaveLimiterHint : 1
; COMPUTE_PGM_RSRC2:SCRATCH_EN: 0
; COMPUTE_PGM_RSRC2:USER_SGPR: 6
; COMPUTE_PGM_RSRC2:TRAP_HANDLER: 0
; COMPUTE_PGM_RSRC2:TGID_X_EN: 1
; COMPUTE_PGM_RSRC2:TGID_Y_EN: 0
; COMPUTE_PGM_RSRC2:TGID_Z_EN: 1
; COMPUTE_PGM_RSRC2:TIDIG_COMP_CNT: 0
	.section	.text._ZL19rocblas_scal_kernelIlLi256EfffPKPfEviT3_lT4_lT_li,"axG",@progbits,_ZL19rocblas_scal_kernelIlLi256EfffPKPfEviT3_lT4_lT_li,comdat
	.globl	_ZL19rocblas_scal_kernelIlLi256EfffPKPfEviT3_lT4_lT_li ; -- Begin function _ZL19rocblas_scal_kernelIlLi256EfffPKPfEviT3_lT4_lT_li
	.p2align	8
	.type	_ZL19rocblas_scal_kernelIlLi256EfffPKPfEviT3_lT4_lT_li,@function
_ZL19rocblas_scal_kernelIlLi256EfffPKPfEviT3_lT4_lT_li: ; @_ZL19rocblas_scal_kernelIlLi256EfffPKPfEviT3_lT4_lT_li
; %bb.0:
	s_load_dwordx2 s[0:1], s[4:5], 0x0
	v_lshl_or_b32 v0, s6, 8, v0
	s_mov_b32 s2, s7
	s_waitcnt lgkmcnt(0)
	v_cmp_neq_f32_e64 s[6:7], s1, 1.0
	v_cmp_gt_u32_e32 vcc, s0, v0
	s_and_b64 s[6:7], vcc, s[6:7]
	s_and_saveexec_b64 s[8:9], s[6:7]
	s_cbranch_execz .LBB57_2
; %bb.1:
	s_load_dwordx2 s[6:7], s[4:5], 0x20
	s_load_dwordx4 s[8:11], s[4:5], 0x10
	s_mov_b32 s3, 0
	s_lshl_b64 s[2:3], s[2:3], 3
	s_waitcnt lgkmcnt(0)
	v_mad_u64_u32 v[1:2], s[4:5], s6, v0, 0
	s_add_u32 s2, s8, s2
	s_addc_u32 s3, s9, s3
	s_load_dwordx2 s[2:3], s[2:3], 0x0
	v_mad_u64_u32 v[2:3], s[4:5], s7, v0, v[2:3]
	s_lshl_b64 s[4:5], s[10:11], 2
	s_waitcnt lgkmcnt(0)
	s_add_u32 s0, s2, s4
	v_lshlrev_b64 v[0:1], 2, v[1:2]
	s_addc_u32 s2, s3, s5
	v_mov_b32_e32 v2, s2
	v_add_co_u32_e32 v0, vcc, s0, v0
	v_addc_co_u32_e32 v1, vcc, v2, v1, vcc
	flat_load_dword v2, v[0:1]
	s_waitcnt vmcnt(0) lgkmcnt(0)
	v_mul_f32_e32 v2, s1, v2
	flat_store_dword v[0:1], v2
.LBB57_2:
	s_endpgm
	.section	.rodata,"a",@progbits
	.p2align	6, 0x0
	.amdhsa_kernel _ZL19rocblas_scal_kernelIlLi256EfffPKPfEviT3_lT4_lT_li
		.amdhsa_group_segment_fixed_size 0
		.amdhsa_private_segment_fixed_size 0
		.amdhsa_kernarg_size 52
		.amdhsa_user_sgpr_count 6
		.amdhsa_user_sgpr_private_segment_buffer 1
		.amdhsa_user_sgpr_dispatch_ptr 0
		.amdhsa_user_sgpr_queue_ptr 0
		.amdhsa_user_sgpr_kernarg_segment_ptr 1
		.amdhsa_user_sgpr_dispatch_id 0
		.amdhsa_user_sgpr_flat_scratch_init 0
		.amdhsa_user_sgpr_private_segment_size 0
		.amdhsa_uses_dynamic_stack 0
		.amdhsa_system_sgpr_private_segment_wavefront_offset 0
		.amdhsa_system_sgpr_workgroup_id_x 1
		.amdhsa_system_sgpr_workgroup_id_y 0
		.amdhsa_system_sgpr_workgroup_id_z 1
		.amdhsa_system_sgpr_workgroup_info 0
		.amdhsa_system_vgpr_workitem_id 0
		.amdhsa_next_free_vgpr 4
		.amdhsa_next_free_sgpr 12
		.amdhsa_reserve_vcc 1
		.amdhsa_reserve_flat_scratch 0
		.amdhsa_float_round_mode_32 0
		.amdhsa_float_round_mode_16_64 0
		.amdhsa_float_denorm_mode_32 3
		.amdhsa_float_denorm_mode_16_64 3
		.amdhsa_dx10_clamp 1
		.amdhsa_ieee_mode 1
		.amdhsa_fp16_overflow 0
		.amdhsa_exception_fp_ieee_invalid_op 0
		.amdhsa_exception_fp_denorm_src 0
		.amdhsa_exception_fp_ieee_div_zero 0
		.amdhsa_exception_fp_ieee_overflow 0
		.amdhsa_exception_fp_ieee_underflow 0
		.amdhsa_exception_fp_ieee_inexact 0
		.amdhsa_exception_int_div_zero 0
	.end_amdhsa_kernel
	.section	.text._ZL19rocblas_scal_kernelIlLi256EfffPKPfEviT3_lT4_lT_li,"axG",@progbits,_ZL19rocblas_scal_kernelIlLi256EfffPKPfEviT3_lT4_lT_li,comdat
.Lfunc_end57:
	.size	_ZL19rocblas_scal_kernelIlLi256EfffPKPfEviT3_lT4_lT_li, .Lfunc_end57-_ZL19rocblas_scal_kernelIlLi256EfffPKPfEviT3_lT4_lT_li
                                        ; -- End function
	.set _ZL19rocblas_scal_kernelIlLi256EfffPKPfEviT3_lT4_lT_li.num_vgpr, 4
	.set _ZL19rocblas_scal_kernelIlLi256EfffPKPfEviT3_lT4_lT_li.num_agpr, 0
	.set _ZL19rocblas_scal_kernelIlLi256EfffPKPfEviT3_lT4_lT_li.numbered_sgpr, 12
	.set _ZL19rocblas_scal_kernelIlLi256EfffPKPfEviT3_lT4_lT_li.num_named_barrier, 0
	.set _ZL19rocblas_scal_kernelIlLi256EfffPKPfEviT3_lT4_lT_li.private_seg_size, 0
	.set _ZL19rocblas_scal_kernelIlLi256EfffPKPfEviT3_lT4_lT_li.uses_vcc, 1
	.set _ZL19rocblas_scal_kernelIlLi256EfffPKPfEviT3_lT4_lT_li.uses_flat_scratch, 0
	.set _ZL19rocblas_scal_kernelIlLi256EfffPKPfEviT3_lT4_lT_li.has_dyn_sized_stack, 0
	.set _ZL19rocblas_scal_kernelIlLi256EfffPKPfEviT3_lT4_lT_li.has_recursion, 0
	.set _ZL19rocblas_scal_kernelIlLi256EfffPKPfEviT3_lT4_lT_li.has_indirect_call, 0
	.section	.AMDGPU.csdata,"",@progbits
; Kernel info:
; codeLenInByte = 172
; TotalNumSgprs: 16
; NumVgprs: 4
; ScratchSize: 0
; MemoryBound: 0
; FloatMode: 240
; IeeeMode: 1
; LDSByteSize: 0 bytes/workgroup (compile time only)
; SGPRBlocks: 1
; VGPRBlocks: 0
; NumSGPRsForWavesPerEU: 16
; NumVGPRsForWavesPerEU: 4
; Occupancy: 10
; WaveLimiterHint : 1
; COMPUTE_PGM_RSRC2:SCRATCH_EN: 0
; COMPUTE_PGM_RSRC2:USER_SGPR: 6
; COMPUTE_PGM_RSRC2:TRAP_HANDLER: 0
; COMPUTE_PGM_RSRC2:TGID_X_EN: 1
; COMPUTE_PGM_RSRC2:TGID_Y_EN: 0
; COMPUTE_PGM_RSRC2:TGID_Z_EN: 1
; COMPUTE_PGM_RSRC2:TIDIG_COMP_CNT: 0
	.section	.text._ZL22rocblas_sscal_2_kernelILi256E19rocblas_complex_numIdES1_PKS1_PKPS1_EviT2_lT3_lli,"axG",@progbits,_ZL22rocblas_sscal_2_kernelILi256E19rocblas_complex_numIdES1_PKS1_PKPS1_EviT2_lT3_lli,comdat
	.globl	_ZL22rocblas_sscal_2_kernelILi256E19rocblas_complex_numIdES1_PKS1_PKPS1_EviT2_lT3_lli ; -- Begin function _ZL22rocblas_sscal_2_kernelILi256E19rocblas_complex_numIdES1_PKS1_PKPS1_EviT2_lT3_lli
	.p2align	8
	.type	_ZL22rocblas_sscal_2_kernelILi256E19rocblas_complex_numIdES1_PKS1_PKPS1_EviT2_lT3_lli,@function
_ZL22rocblas_sscal_2_kernelILi256E19rocblas_complex_numIdES1_PKS1_PKPS1_EviT2_lT3_lli: ; @_ZL22rocblas_sscal_2_kernelILi256E19rocblas_complex_numIdES1_PKS1_PKPS1_EviT2_lT3_lli
; %bb.0:
	s_load_dwordx4 s[0:3], s[4:5], 0x8
	s_mov_b32 s8, s7
	s_waitcnt lgkmcnt(0)
	s_mul_i32 s3, s3, s7
	s_mul_hi_u32 s7, s2, s7
	s_add_i32 s3, s7, s3
	s_mul_i32 s2, s2, s8
	s_lshl_b64 s[2:3], s[2:3], 4
	s_add_u32 s10, s0, s2
	s_addc_u32 s11, s1, s3
	s_load_dwordx4 s[0:3], s[10:11], 0x0
	s_waitcnt lgkmcnt(0)
	v_cmp_neq_f64_e64 s[10:11], s[0:1], 1.0
	v_cmp_neq_f64_e64 s[12:13], s[2:3], 0
	s_or_b64 s[10:11], s[10:11], s[12:13]
	s_andn2_b64 vcc, exec, s[10:11]
	s_cbranch_vccnz .LBB58_5
; %bb.1:
	s_load_dwordx4 s[12:15], s[4:5], 0x18
	s_load_dword s7, s[4:5], 0x0
	s_mov_b32 s9, 0
	s_lshl_b64 s[4:5], s[8:9], 3
	v_lshlrev_b32_e32 v0, 1, v0
	s_waitcnt lgkmcnt(0)
	s_add_u32 s4, s12, s4
	s_addc_u32 s5, s13, s5
	s_load_dwordx2 s[4:5], s[4:5], 0x0
	v_lshl_or_b32 v0, s6, 9, v0
	s_lshl_b64 s[8:9], s[14:15], 4
	v_or_b32_e32 v1, 1, v0
	v_cmp_gt_u32_e32 vcc, s7, v1
	s_waitcnt lgkmcnt(0)
	s_add_u32 s6, s4, s8
	s_addc_u32 s8, s5, s9
	s_and_saveexec_b64 s[4:5], vcc
	s_cbranch_execz .LBB58_3
; %bb.2:
	v_mov_b32_e32 v1, 0
	v_lshlrev_b64 v[1:2], 4, v[0:1]
	v_mov_b32_e32 v3, s8
	v_add_co_u32_e32 v13, vcc, s6, v1
	v_addc_co_u32_e32 v14, vcc, v3, v2, vcc
	flat_load_dwordx4 v[1:4], v[13:14]
	flat_load_dwordx4 v[5:8], v[13:14] offset:16
	s_waitcnt vmcnt(0) lgkmcnt(0)
	v_mul_f64 v[9:10], s[2:3], v[3:4]
	v_mul_f64 v[3:4], s[0:1], v[3:4]
	;; [unrolled: 1-line block ×3, first 2 shown]
	v_fma_f64 v[9:10], s[0:1], v[1:2], -v[9:10]
	v_fma_f64 v[11:12], s[2:3], v[1:2], v[3:4]
	v_mul_f64 v[3:4], s[0:1], v[7:8]
	v_fma_f64 v[1:2], s[0:1], v[5:6], -v[15:16]
	v_fma_f64 v[3:4], s[2:3], v[5:6], v[3:4]
	flat_store_dwordx4 v[13:14], v[9:12]
	flat_store_dwordx4 v[13:14], v[1:4] offset:16
.LBB58_3:
	s_or_b64 exec, exec, s[4:5]
	s_bitcmp1_b32 s7, 0
	s_cselect_b64 s[4:5], -1, 0
	s_add_i32 s7, s7, -1
	v_cmp_eq_u32_e32 vcc, s7, v0
	s_and_b64 s[4:5], s[4:5], vcc
	s_and_saveexec_b64 s[10:11], s[4:5]
	s_cbranch_execz .LBB58_5
; %bb.4:
	v_mov_b32_e32 v1, 0
	v_lshlrev_b64 v[0:1], 4, v[0:1]
	v_mov_b32_e32 v2, s8
	v_add_co_u32_e32 v6, vcc, s6, v0
	v_addc_co_u32_e32 v7, vcc, v2, v1, vcc
	flat_load_dwordx4 v[0:3], v[6:7]
	s_waitcnt vmcnt(0) lgkmcnt(0)
	v_mul_f64 v[4:5], s[2:3], v[2:3]
	v_mul_f64 v[8:9], s[0:1], v[2:3]
	v_fma_f64 v[2:3], s[0:1], v[0:1], -v[4:5]
	v_fma_f64 v[4:5], s[2:3], v[0:1], v[8:9]
	flat_store_dwordx4 v[6:7], v[2:5]
.LBB58_5:
	s_endpgm
	.section	.rodata,"a",@progbits
	.p2align	6, 0x0
	.amdhsa_kernel _ZL22rocblas_sscal_2_kernelILi256E19rocblas_complex_numIdES1_PKS1_PKPS1_EviT2_lT3_lli
		.amdhsa_group_segment_fixed_size 0
		.amdhsa_private_segment_fixed_size 0
		.amdhsa_kernarg_size 52
		.amdhsa_user_sgpr_count 6
		.amdhsa_user_sgpr_private_segment_buffer 1
		.amdhsa_user_sgpr_dispatch_ptr 0
		.amdhsa_user_sgpr_queue_ptr 0
		.amdhsa_user_sgpr_kernarg_segment_ptr 1
		.amdhsa_user_sgpr_dispatch_id 0
		.amdhsa_user_sgpr_flat_scratch_init 0
		.amdhsa_user_sgpr_private_segment_size 0
		.amdhsa_uses_dynamic_stack 0
		.amdhsa_system_sgpr_private_segment_wavefront_offset 0
		.amdhsa_system_sgpr_workgroup_id_x 1
		.amdhsa_system_sgpr_workgroup_id_y 0
		.amdhsa_system_sgpr_workgroup_id_z 1
		.amdhsa_system_sgpr_workgroup_info 0
		.amdhsa_system_vgpr_workitem_id 0
		.amdhsa_next_free_vgpr 17
		.amdhsa_next_free_sgpr 16
		.amdhsa_reserve_vcc 1
		.amdhsa_reserve_flat_scratch 0
		.amdhsa_float_round_mode_32 0
		.amdhsa_float_round_mode_16_64 0
		.amdhsa_float_denorm_mode_32 3
		.amdhsa_float_denorm_mode_16_64 3
		.amdhsa_dx10_clamp 1
		.amdhsa_ieee_mode 1
		.amdhsa_fp16_overflow 0
		.amdhsa_exception_fp_ieee_invalid_op 0
		.amdhsa_exception_fp_denorm_src 0
		.amdhsa_exception_fp_ieee_div_zero 0
		.amdhsa_exception_fp_ieee_overflow 0
		.amdhsa_exception_fp_ieee_underflow 0
		.amdhsa_exception_fp_ieee_inexact 0
		.amdhsa_exception_int_div_zero 0
	.end_amdhsa_kernel
	.section	.text._ZL22rocblas_sscal_2_kernelILi256E19rocblas_complex_numIdES1_PKS1_PKPS1_EviT2_lT3_lli,"axG",@progbits,_ZL22rocblas_sscal_2_kernelILi256E19rocblas_complex_numIdES1_PKS1_PKPS1_EviT2_lT3_lli,comdat
.Lfunc_end58:
	.size	_ZL22rocblas_sscal_2_kernelILi256E19rocblas_complex_numIdES1_PKS1_PKPS1_EviT2_lT3_lli, .Lfunc_end58-_ZL22rocblas_sscal_2_kernelILi256E19rocblas_complex_numIdES1_PKS1_PKPS1_EviT2_lT3_lli
                                        ; -- End function
	.set _ZL22rocblas_sscal_2_kernelILi256E19rocblas_complex_numIdES1_PKS1_PKPS1_EviT2_lT3_lli.num_vgpr, 17
	.set _ZL22rocblas_sscal_2_kernelILi256E19rocblas_complex_numIdES1_PKS1_PKPS1_EviT2_lT3_lli.num_agpr, 0
	.set _ZL22rocblas_sscal_2_kernelILi256E19rocblas_complex_numIdES1_PKS1_PKPS1_EviT2_lT3_lli.numbered_sgpr, 16
	.set _ZL22rocblas_sscal_2_kernelILi256E19rocblas_complex_numIdES1_PKS1_PKPS1_EviT2_lT3_lli.num_named_barrier, 0
	.set _ZL22rocblas_sscal_2_kernelILi256E19rocblas_complex_numIdES1_PKS1_PKPS1_EviT2_lT3_lli.private_seg_size, 0
	.set _ZL22rocblas_sscal_2_kernelILi256E19rocblas_complex_numIdES1_PKS1_PKPS1_EviT2_lT3_lli.uses_vcc, 1
	.set _ZL22rocblas_sscal_2_kernelILi256E19rocblas_complex_numIdES1_PKS1_PKPS1_EviT2_lT3_lli.uses_flat_scratch, 0
	.set _ZL22rocblas_sscal_2_kernelILi256E19rocblas_complex_numIdES1_PKS1_PKPS1_EviT2_lT3_lli.has_dyn_sized_stack, 0
	.set _ZL22rocblas_sscal_2_kernelILi256E19rocblas_complex_numIdES1_PKS1_PKPS1_EviT2_lT3_lli.has_recursion, 0
	.set _ZL22rocblas_sscal_2_kernelILi256E19rocblas_complex_numIdES1_PKS1_PKPS1_EviT2_lT3_lli.has_indirect_call, 0
	.section	.AMDGPU.csdata,"",@progbits
; Kernel info:
; codeLenInByte = 408
; TotalNumSgprs: 20
; NumVgprs: 17
; ScratchSize: 0
; MemoryBound: 0
; FloatMode: 240
; IeeeMode: 1
; LDSByteSize: 0 bytes/workgroup (compile time only)
; SGPRBlocks: 2
; VGPRBlocks: 4
; NumSGPRsForWavesPerEU: 20
; NumVGPRsForWavesPerEU: 17
; Occupancy: 10
; WaveLimiterHint : 1
; COMPUTE_PGM_RSRC2:SCRATCH_EN: 0
; COMPUTE_PGM_RSRC2:USER_SGPR: 6
; COMPUTE_PGM_RSRC2:TRAP_HANDLER: 0
; COMPUTE_PGM_RSRC2:TGID_X_EN: 1
; COMPUTE_PGM_RSRC2:TGID_Y_EN: 0
; COMPUTE_PGM_RSRC2:TGID_Z_EN: 1
; COMPUTE_PGM_RSRC2:TIDIG_COMP_CNT: 0
	.section	.text._ZL22rocblas_sscal_2_kernelILi256E19rocblas_complex_numIdES1_S1_PKPS1_EviT2_lT3_lli,"axG",@progbits,_ZL22rocblas_sscal_2_kernelILi256E19rocblas_complex_numIdES1_S1_PKPS1_EviT2_lT3_lli,comdat
	.globl	_ZL22rocblas_sscal_2_kernelILi256E19rocblas_complex_numIdES1_S1_PKPS1_EviT2_lT3_lli ; -- Begin function _ZL22rocblas_sscal_2_kernelILi256E19rocblas_complex_numIdES1_S1_PKPS1_EviT2_lT3_lli
	.p2align	8
	.type	_ZL22rocblas_sscal_2_kernelILi256E19rocblas_complex_numIdES1_S1_PKPS1_EviT2_lT3_lli,@function
_ZL22rocblas_sscal_2_kernelILi256E19rocblas_complex_numIdES1_S1_PKPS1_EviT2_lT3_lli: ; @_ZL22rocblas_sscal_2_kernelILi256E19rocblas_complex_numIdES1_S1_PKPS1_EviT2_lT3_lli
; %bb.0:
	s_load_dwordx4 s[0:3], s[4:5], 0x8
	s_waitcnt lgkmcnt(0)
	v_cmp_neq_f64_e64 s[10:11], s[0:1], 1.0
	v_cmp_neq_f64_e64 s[12:13], s[2:3], 0
	s_or_b64 s[10:11], s[10:11], s[12:13]
	s_andn2_b64 vcc, exec, s[10:11]
	s_cbranch_vccnz .LBB59_5
; %bb.1:
	s_mov_b32 s8, s7
	s_load_dwordx4 s[12:15], s[4:5], 0x20
	s_load_dword s7, s[4:5], 0x0
	s_mov_b32 s9, 0
	s_lshl_b64 s[4:5], s[8:9], 3
	v_lshlrev_b32_e32 v0, 1, v0
	s_waitcnt lgkmcnt(0)
	s_add_u32 s4, s12, s4
	s_addc_u32 s5, s13, s5
	s_load_dwordx2 s[4:5], s[4:5], 0x0
	v_lshl_or_b32 v0, s6, 9, v0
	s_lshl_b64 s[8:9], s[14:15], 4
	v_or_b32_e32 v1, 1, v0
	v_cmp_gt_u32_e32 vcc, s7, v1
	s_waitcnt lgkmcnt(0)
	s_add_u32 s6, s4, s8
	s_addc_u32 s8, s5, s9
	s_and_saveexec_b64 s[4:5], vcc
	s_cbranch_execz .LBB59_3
; %bb.2:
	v_mov_b32_e32 v1, 0
	v_lshlrev_b64 v[1:2], 4, v[0:1]
	v_mov_b32_e32 v3, s8
	v_add_co_u32_e32 v13, vcc, s6, v1
	v_addc_co_u32_e32 v14, vcc, v3, v2, vcc
	flat_load_dwordx4 v[1:4], v[13:14]
	flat_load_dwordx4 v[5:8], v[13:14] offset:16
	s_waitcnt vmcnt(0) lgkmcnt(0)
	v_mul_f64 v[9:10], s[2:3], v[3:4]
	v_mul_f64 v[3:4], s[0:1], v[3:4]
	;; [unrolled: 1-line block ×3, first 2 shown]
	v_fma_f64 v[9:10], s[0:1], v[1:2], -v[9:10]
	v_fma_f64 v[11:12], s[2:3], v[1:2], v[3:4]
	v_mul_f64 v[3:4], s[0:1], v[7:8]
	v_fma_f64 v[1:2], s[0:1], v[5:6], -v[15:16]
	v_fma_f64 v[3:4], s[2:3], v[5:6], v[3:4]
	flat_store_dwordx4 v[13:14], v[9:12]
	flat_store_dwordx4 v[13:14], v[1:4] offset:16
.LBB59_3:
	s_or_b64 exec, exec, s[4:5]
	s_bitcmp1_b32 s7, 0
	s_cselect_b64 s[4:5], -1, 0
	s_add_i32 s7, s7, -1
	v_cmp_eq_u32_e32 vcc, s7, v0
	s_and_b64 s[4:5], s[4:5], vcc
	s_and_saveexec_b64 s[10:11], s[4:5]
	s_cbranch_execz .LBB59_5
; %bb.4:
	v_mov_b32_e32 v1, 0
	v_lshlrev_b64 v[0:1], 4, v[0:1]
	v_mov_b32_e32 v2, s8
	v_add_co_u32_e32 v6, vcc, s6, v0
	v_addc_co_u32_e32 v7, vcc, v2, v1, vcc
	flat_load_dwordx4 v[0:3], v[6:7]
	s_waitcnt vmcnt(0) lgkmcnt(0)
	v_mul_f64 v[4:5], s[2:3], v[2:3]
	v_mul_f64 v[8:9], s[0:1], v[2:3]
	v_fma_f64 v[2:3], s[0:1], v[0:1], -v[4:5]
	v_fma_f64 v[4:5], s[2:3], v[0:1], v[8:9]
	flat_store_dwordx4 v[6:7], v[2:5]
.LBB59_5:
	s_endpgm
	.section	.rodata,"a",@progbits
	.p2align	6, 0x0
	.amdhsa_kernel _ZL22rocblas_sscal_2_kernelILi256E19rocblas_complex_numIdES1_S1_PKPS1_EviT2_lT3_lli
		.amdhsa_group_segment_fixed_size 0
		.amdhsa_private_segment_fixed_size 0
		.amdhsa_kernarg_size 60
		.amdhsa_user_sgpr_count 6
		.amdhsa_user_sgpr_private_segment_buffer 1
		.amdhsa_user_sgpr_dispatch_ptr 0
		.amdhsa_user_sgpr_queue_ptr 0
		.amdhsa_user_sgpr_kernarg_segment_ptr 1
		.amdhsa_user_sgpr_dispatch_id 0
		.amdhsa_user_sgpr_flat_scratch_init 0
		.amdhsa_user_sgpr_private_segment_size 0
		.amdhsa_uses_dynamic_stack 0
		.amdhsa_system_sgpr_private_segment_wavefront_offset 0
		.amdhsa_system_sgpr_workgroup_id_x 1
		.amdhsa_system_sgpr_workgroup_id_y 0
		.amdhsa_system_sgpr_workgroup_id_z 1
		.amdhsa_system_sgpr_workgroup_info 0
		.amdhsa_system_vgpr_workitem_id 0
		.amdhsa_next_free_vgpr 17
		.amdhsa_next_free_sgpr 16
		.amdhsa_reserve_vcc 1
		.amdhsa_reserve_flat_scratch 0
		.amdhsa_float_round_mode_32 0
		.amdhsa_float_round_mode_16_64 0
		.amdhsa_float_denorm_mode_32 3
		.amdhsa_float_denorm_mode_16_64 3
		.amdhsa_dx10_clamp 1
		.amdhsa_ieee_mode 1
		.amdhsa_fp16_overflow 0
		.amdhsa_exception_fp_ieee_invalid_op 0
		.amdhsa_exception_fp_denorm_src 0
		.amdhsa_exception_fp_ieee_div_zero 0
		.amdhsa_exception_fp_ieee_overflow 0
		.amdhsa_exception_fp_ieee_underflow 0
		.amdhsa_exception_fp_ieee_inexact 0
		.amdhsa_exception_int_div_zero 0
	.end_amdhsa_kernel
	.section	.text._ZL22rocblas_sscal_2_kernelILi256E19rocblas_complex_numIdES1_S1_PKPS1_EviT2_lT3_lli,"axG",@progbits,_ZL22rocblas_sscal_2_kernelILi256E19rocblas_complex_numIdES1_S1_PKPS1_EviT2_lT3_lli,comdat
.Lfunc_end59:
	.size	_ZL22rocblas_sscal_2_kernelILi256E19rocblas_complex_numIdES1_S1_PKPS1_EviT2_lT3_lli, .Lfunc_end59-_ZL22rocblas_sscal_2_kernelILi256E19rocblas_complex_numIdES1_S1_PKPS1_EviT2_lT3_lli
                                        ; -- End function
	.set _ZL22rocblas_sscal_2_kernelILi256E19rocblas_complex_numIdES1_S1_PKPS1_EviT2_lT3_lli.num_vgpr, 17
	.set _ZL22rocblas_sscal_2_kernelILi256E19rocblas_complex_numIdES1_S1_PKPS1_EviT2_lT3_lli.num_agpr, 0
	.set _ZL22rocblas_sscal_2_kernelILi256E19rocblas_complex_numIdES1_S1_PKPS1_EviT2_lT3_lli.numbered_sgpr, 16
	.set _ZL22rocblas_sscal_2_kernelILi256E19rocblas_complex_numIdES1_S1_PKPS1_EviT2_lT3_lli.num_named_barrier, 0
	.set _ZL22rocblas_sscal_2_kernelILi256E19rocblas_complex_numIdES1_S1_PKPS1_EviT2_lT3_lli.private_seg_size, 0
	.set _ZL22rocblas_sscal_2_kernelILi256E19rocblas_complex_numIdES1_S1_PKPS1_EviT2_lT3_lli.uses_vcc, 1
	.set _ZL22rocblas_sscal_2_kernelILi256E19rocblas_complex_numIdES1_S1_PKPS1_EviT2_lT3_lli.uses_flat_scratch, 0
	.set _ZL22rocblas_sscal_2_kernelILi256E19rocblas_complex_numIdES1_S1_PKPS1_EviT2_lT3_lli.has_dyn_sized_stack, 0
	.set _ZL22rocblas_sscal_2_kernelILi256E19rocblas_complex_numIdES1_S1_PKPS1_EviT2_lT3_lli.has_recursion, 0
	.set _ZL22rocblas_sscal_2_kernelILi256E19rocblas_complex_numIdES1_S1_PKPS1_EviT2_lT3_lli.has_indirect_call, 0
	.section	.AMDGPU.csdata,"",@progbits
; Kernel info:
; codeLenInByte = 368
; TotalNumSgprs: 20
; NumVgprs: 17
; ScratchSize: 0
; MemoryBound: 0
; FloatMode: 240
; IeeeMode: 1
; LDSByteSize: 0 bytes/workgroup (compile time only)
; SGPRBlocks: 2
; VGPRBlocks: 4
; NumSGPRsForWavesPerEU: 20
; NumVGPRsForWavesPerEU: 17
; Occupancy: 10
; WaveLimiterHint : 1
; COMPUTE_PGM_RSRC2:SCRATCH_EN: 0
; COMPUTE_PGM_RSRC2:USER_SGPR: 6
; COMPUTE_PGM_RSRC2:TRAP_HANDLER: 0
; COMPUTE_PGM_RSRC2:TGID_X_EN: 1
; COMPUTE_PGM_RSRC2:TGID_Y_EN: 0
; COMPUTE_PGM_RSRC2:TGID_Z_EN: 1
; COMPUTE_PGM_RSRC2:TIDIG_COMP_CNT: 0
	.section	.text._ZL19rocblas_scal_kernelIiLi256E19rocblas_complex_numIdES1_PKS1_PKPS1_EviT3_lT4_lT_li,"axG",@progbits,_ZL19rocblas_scal_kernelIiLi256E19rocblas_complex_numIdES1_PKS1_PKPS1_EviT3_lT4_lT_li,comdat
	.globl	_ZL19rocblas_scal_kernelIiLi256E19rocblas_complex_numIdES1_PKS1_PKPS1_EviT3_lT4_lT_li ; -- Begin function _ZL19rocblas_scal_kernelIiLi256E19rocblas_complex_numIdES1_PKS1_PKPS1_EviT3_lT4_lT_li
	.p2align	8
	.type	_ZL19rocblas_scal_kernelIiLi256E19rocblas_complex_numIdES1_PKS1_PKPS1_EviT3_lT4_lT_li,@function
_ZL19rocblas_scal_kernelIiLi256E19rocblas_complex_numIdES1_PKS1_PKPS1_EviT3_lT4_lT_li: ; @_ZL19rocblas_scal_kernelIiLi256E19rocblas_complex_numIdES1_PKS1_PKPS1_EviT3_lT4_lT_li
; %bb.0:
	s_load_dwordx8 s[8:15], s[4:5], 0x8
	s_load_dword s17, s[4:5], 0x0
	v_lshl_or_b32 v0, s6, 8, v0
	s_mov_b32 s16, s7
	s_waitcnt lgkmcnt(0)
	s_mul_i32 s0, s11, s7
	s_mul_hi_u32 s1, s10, s7
	s_add_i32 s1, s1, s0
	s_mul_i32 s0, s10, s7
	s_lshl_b64 s[0:1], s[0:1], 4
	s_add_u32 s8, s8, s0
	s_addc_u32 s9, s9, s1
	s_load_dwordx4 s[0:3], s[8:9], 0x0
	v_cmp_gt_u32_e32 vcc, s17, v0
	s_waitcnt lgkmcnt(0)
	v_cmp_neq_f64_e64 s[8:9], s[0:1], 1.0
	v_cmp_neq_f64_e64 s[10:11], s[2:3], 0
	s_or_b64 s[6:7], s[8:9], s[10:11]
	s_and_b64 s[6:7], vcc, s[6:7]
	s_and_saveexec_b64 s[8:9], s[6:7]
	s_cbranch_execz .LBB60_2
; %bb.1:
	s_load_dword s6, s[4:5], 0x28
	s_mov_b32 s17, 0
	s_lshl_b64 s[4:5], s[16:17], 3
	s_waitcnt lgkmcnt(0)
	s_ashr_i32 s8, s6, 31
	v_mad_u64_u32 v[1:2], s[6:7], s6, v0, 0
	s_add_u32 s4, s12, s4
	s_addc_u32 s5, s13, s5
	s_load_dwordx2 s[4:5], s[4:5], 0x0
	v_mad_u64_u32 v[2:3], s[6:7], s8, v0, v[2:3]
	s_lshl_b64 s[6:7], s[14:15], 4
	s_waitcnt lgkmcnt(0)
	s_add_u32 s4, s4, s6
	v_lshlrev_b64 v[0:1], 4, v[1:2]
	s_addc_u32 s5, s5, s7
	v_mov_b32_e32 v2, s5
	v_add_co_u32_e32 v6, vcc, s4, v0
	v_addc_co_u32_e32 v7, vcc, v2, v1, vcc
	flat_load_dwordx4 v[0:3], v[6:7]
	s_waitcnt vmcnt(0) lgkmcnt(0)
	v_mul_f64 v[4:5], s[2:3], v[2:3]
	v_mul_f64 v[8:9], s[0:1], v[2:3]
	v_fma_f64 v[2:3], s[0:1], v[0:1], -v[4:5]
	v_fma_f64 v[4:5], s[2:3], v[0:1], v[8:9]
	flat_store_dwordx4 v[6:7], v[2:5]
.LBB60_2:
	s_endpgm
	.section	.rodata,"a",@progbits
	.p2align	6, 0x0
	.amdhsa_kernel _ZL19rocblas_scal_kernelIiLi256E19rocblas_complex_numIdES1_PKS1_PKPS1_EviT3_lT4_lT_li
		.amdhsa_group_segment_fixed_size 0
		.amdhsa_private_segment_fixed_size 0
		.amdhsa_kernarg_size 60
		.amdhsa_user_sgpr_count 6
		.amdhsa_user_sgpr_private_segment_buffer 1
		.amdhsa_user_sgpr_dispatch_ptr 0
		.amdhsa_user_sgpr_queue_ptr 0
		.amdhsa_user_sgpr_kernarg_segment_ptr 1
		.amdhsa_user_sgpr_dispatch_id 0
		.amdhsa_user_sgpr_flat_scratch_init 0
		.amdhsa_user_sgpr_private_segment_size 0
		.amdhsa_uses_dynamic_stack 0
		.amdhsa_system_sgpr_private_segment_wavefront_offset 0
		.amdhsa_system_sgpr_workgroup_id_x 1
		.amdhsa_system_sgpr_workgroup_id_y 0
		.amdhsa_system_sgpr_workgroup_id_z 1
		.amdhsa_system_sgpr_workgroup_info 0
		.amdhsa_system_vgpr_workitem_id 0
		.amdhsa_next_free_vgpr 10
		.amdhsa_next_free_sgpr 18
		.amdhsa_reserve_vcc 1
		.amdhsa_reserve_flat_scratch 0
		.amdhsa_float_round_mode_32 0
		.amdhsa_float_round_mode_16_64 0
		.amdhsa_float_denorm_mode_32 3
		.amdhsa_float_denorm_mode_16_64 3
		.amdhsa_dx10_clamp 1
		.amdhsa_ieee_mode 1
		.amdhsa_fp16_overflow 0
		.amdhsa_exception_fp_ieee_invalid_op 0
		.amdhsa_exception_fp_denorm_src 0
		.amdhsa_exception_fp_ieee_div_zero 0
		.amdhsa_exception_fp_ieee_overflow 0
		.amdhsa_exception_fp_ieee_underflow 0
		.amdhsa_exception_fp_ieee_inexact 0
		.amdhsa_exception_int_div_zero 0
	.end_amdhsa_kernel
	.section	.text._ZL19rocblas_scal_kernelIiLi256E19rocblas_complex_numIdES1_PKS1_PKPS1_EviT3_lT4_lT_li,"axG",@progbits,_ZL19rocblas_scal_kernelIiLi256E19rocblas_complex_numIdES1_PKS1_PKPS1_EviT3_lT4_lT_li,comdat
.Lfunc_end60:
	.size	_ZL19rocblas_scal_kernelIiLi256E19rocblas_complex_numIdES1_PKS1_PKPS1_EviT3_lT4_lT_li, .Lfunc_end60-_ZL19rocblas_scal_kernelIiLi256E19rocblas_complex_numIdES1_PKS1_PKPS1_EviT3_lT4_lT_li
                                        ; -- End function
	.set _ZL19rocblas_scal_kernelIiLi256E19rocblas_complex_numIdES1_PKS1_PKPS1_EviT3_lT4_lT_li.num_vgpr, 10
	.set _ZL19rocblas_scal_kernelIiLi256E19rocblas_complex_numIdES1_PKS1_PKPS1_EviT3_lT4_lT_li.num_agpr, 0
	.set _ZL19rocblas_scal_kernelIiLi256E19rocblas_complex_numIdES1_PKS1_PKPS1_EviT3_lT4_lT_li.numbered_sgpr, 18
	.set _ZL19rocblas_scal_kernelIiLi256E19rocblas_complex_numIdES1_PKS1_PKPS1_EviT3_lT4_lT_li.num_named_barrier, 0
	.set _ZL19rocblas_scal_kernelIiLi256E19rocblas_complex_numIdES1_PKS1_PKPS1_EviT3_lT4_lT_li.private_seg_size, 0
	.set _ZL19rocblas_scal_kernelIiLi256E19rocblas_complex_numIdES1_PKS1_PKPS1_EviT3_lT4_lT_li.uses_vcc, 1
	.set _ZL19rocblas_scal_kernelIiLi256E19rocblas_complex_numIdES1_PKS1_PKPS1_EviT3_lT4_lT_li.uses_flat_scratch, 0
	.set _ZL19rocblas_scal_kernelIiLi256E19rocblas_complex_numIdES1_PKS1_PKPS1_EviT3_lT4_lT_li.has_dyn_sized_stack, 0
	.set _ZL19rocblas_scal_kernelIiLi256E19rocblas_complex_numIdES1_PKS1_PKPS1_EviT3_lT4_lT_li.has_recursion, 0
	.set _ZL19rocblas_scal_kernelIiLi256E19rocblas_complex_numIdES1_PKS1_PKPS1_EviT3_lT4_lT_li.has_indirect_call, 0
	.section	.AMDGPU.csdata,"",@progbits
; Kernel info:
; codeLenInByte = 256
; TotalNumSgprs: 22
; NumVgprs: 10
; ScratchSize: 0
; MemoryBound: 0
; FloatMode: 240
; IeeeMode: 1
; LDSByteSize: 0 bytes/workgroup (compile time only)
; SGPRBlocks: 2
; VGPRBlocks: 2
; NumSGPRsForWavesPerEU: 22
; NumVGPRsForWavesPerEU: 10
; Occupancy: 10
; WaveLimiterHint : 1
; COMPUTE_PGM_RSRC2:SCRATCH_EN: 0
; COMPUTE_PGM_RSRC2:USER_SGPR: 6
; COMPUTE_PGM_RSRC2:TRAP_HANDLER: 0
; COMPUTE_PGM_RSRC2:TGID_X_EN: 1
; COMPUTE_PGM_RSRC2:TGID_Y_EN: 0
; COMPUTE_PGM_RSRC2:TGID_Z_EN: 1
; COMPUTE_PGM_RSRC2:TIDIG_COMP_CNT: 0
	.section	.text._ZL19rocblas_scal_kernelIiLi256E19rocblas_complex_numIdES1_S1_PKPS1_EviT3_lT4_lT_li,"axG",@progbits,_ZL19rocblas_scal_kernelIiLi256E19rocblas_complex_numIdES1_S1_PKPS1_EviT3_lT4_lT_li,comdat
	.globl	_ZL19rocblas_scal_kernelIiLi256E19rocblas_complex_numIdES1_S1_PKPS1_EviT3_lT4_lT_li ; -- Begin function _ZL19rocblas_scal_kernelIiLi256E19rocblas_complex_numIdES1_S1_PKPS1_EviT3_lT4_lT_li
	.p2align	8
	.type	_ZL19rocblas_scal_kernelIiLi256E19rocblas_complex_numIdES1_S1_PKPS1_EviT3_lT4_lT_li,@function
_ZL19rocblas_scal_kernelIiLi256E19rocblas_complex_numIdES1_S1_PKPS1_EviT3_lT4_lT_li: ; @_ZL19rocblas_scal_kernelIiLi256E19rocblas_complex_numIdES1_S1_PKPS1_EviT3_lT4_lT_li
; %bb.0:
	s_load_dwordx4 s[0:3], s[4:5], 0x8
	s_load_dword s9, s[4:5], 0x0
	v_lshl_or_b32 v0, s6, 8, v0
	s_mov_b32 s8, s7
	s_waitcnt lgkmcnt(0)
	v_cmp_neq_f64_e64 s[10:11], s[0:1], 1.0
	v_cmp_neq_f64_e64 s[12:13], s[2:3], 0
	v_cmp_gt_u32_e32 vcc, s9, v0
	s_or_b64 s[6:7], s[10:11], s[12:13]
	s_and_b64 s[6:7], vcc, s[6:7]
	s_and_saveexec_b64 s[10:11], s[6:7]
	s_cbranch_execz .LBB61_2
; %bb.1:
	s_load_dword s6, s[4:5], 0x30
	s_load_dwordx4 s[12:15], s[4:5], 0x20
	s_mov_b32 s9, 0
	s_lshl_b64 s[4:5], s[8:9], 3
	s_waitcnt lgkmcnt(0)
	s_ashr_i32 s8, s6, 31
	v_mad_u64_u32 v[1:2], s[6:7], s6, v0, 0
	s_add_u32 s4, s12, s4
	s_addc_u32 s5, s13, s5
	s_load_dwordx2 s[4:5], s[4:5], 0x0
	v_mad_u64_u32 v[2:3], s[6:7], s8, v0, v[2:3]
	s_lshl_b64 s[6:7], s[14:15], 4
	s_waitcnt lgkmcnt(0)
	s_add_u32 s4, s4, s6
	v_lshlrev_b64 v[0:1], 4, v[1:2]
	s_addc_u32 s5, s5, s7
	v_mov_b32_e32 v2, s5
	v_add_co_u32_e32 v6, vcc, s4, v0
	v_addc_co_u32_e32 v7, vcc, v2, v1, vcc
	flat_load_dwordx4 v[0:3], v[6:7]
	s_waitcnt vmcnt(0) lgkmcnt(0)
	v_mul_f64 v[4:5], s[2:3], v[2:3]
	v_mul_f64 v[8:9], s[0:1], v[2:3]
	v_fma_f64 v[2:3], s[0:1], v[0:1], -v[4:5]
	v_fma_f64 v[4:5], s[2:3], v[0:1], v[8:9]
	flat_store_dwordx4 v[6:7], v[2:5]
.LBB61_2:
	s_endpgm
	.section	.rodata,"a",@progbits
	.p2align	6, 0x0
	.amdhsa_kernel _ZL19rocblas_scal_kernelIiLi256E19rocblas_complex_numIdES1_S1_PKPS1_EviT3_lT4_lT_li
		.amdhsa_group_segment_fixed_size 0
		.amdhsa_private_segment_fixed_size 0
		.amdhsa_kernarg_size 68
		.amdhsa_user_sgpr_count 6
		.amdhsa_user_sgpr_private_segment_buffer 1
		.amdhsa_user_sgpr_dispatch_ptr 0
		.amdhsa_user_sgpr_queue_ptr 0
		.amdhsa_user_sgpr_kernarg_segment_ptr 1
		.amdhsa_user_sgpr_dispatch_id 0
		.amdhsa_user_sgpr_flat_scratch_init 0
		.amdhsa_user_sgpr_private_segment_size 0
		.amdhsa_uses_dynamic_stack 0
		.amdhsa_system_sgpr_private_segment_wavefront_offset 0
		.amdhsa_system_sgpr_workgroup_id_x 1
		.amdhsa_system_sgpr_workgroup_id_y 0
		.amdhsa_system_sgpr_workgroup_id_z 1
		.amdhsa_system_sgpr_workgroup_info 0
		.amdhsa_system_vgpr_workitem_id 0
		.amdhsa_next_free_vgpr 10
		.amdhsa_next_free_sgpr 16
		.amdhsa_reserve_vcc 1
		.amdhsa_reserve_flat_scratch 0
		.amdhsa_float_round_mode_32 0
		.amdhsa_float_round_mode_16_64 0
		.amdhsa_float_denorm_mode_32 3
		.amdhsa_float_denorm_mode_16_64 3
		.amdhsa_dx10_clamp 1
		.amdhsa_ieee_mode 1
		.amdhsa_fp16_overflow 0
		.amdhsa_exception_fp_ieee_invalid_op 0
		.amdhsa_exception_fp_denorm_src 0
		.amdhsa_exception_fp_ieee_div_zero 0
		.amdhsa_exception_fp_ieee_overflow 0
		.amdhsa_exception_fp_ieee_underflow 0
		.amdhsa_exception_fp_ieee_inexact 0
		.amdhsa_exception_int_div_zero 0
	.end_amdhsa_kernel
	.section	.text._ZL19rocblas_scal_kernelIiLi256E19rocblas_complex_numIdES1_S1_PKPS1_EviT3_lT4_lT_li,"axG",@progbits,_ZL19rocblas_scal_kernelIiLi256E19rocblas_complex_numIdES1_S1_PKPS1_EviT3_lT4_lT_li,comdat
.Lfunc_end61:
	.size	_ZL19rocblas_scal_kernelIiLi256E19rocblas_complex_numIdES1_S1_PKPS1_EviT3_lT4_lT_li, .Lfunc_end61-_ZL19rocblas_scal_kernelIiLi256E19rocblas_complex_numIdES1_S1_PKPS1_EviT3_lT4_lT_li
                                        ; -- End function
	.set _ZL19rocblas_scal_kernelIiLi256E19rocblas_complex_numIdES1_S1_PKPS1_EviT3_lT4_lT_li.num_vgpr, 10
	.set _ZL19rocblas_scal_kernelIiLi256E19rocblas_complex_numIdES1_S1_PKPS1_EviT3_lT4_lT_li.num_agpr, 0
	.set _ZL19rocblas_scal_kernelIiLi256E19rocblas_complex_numIdES1_S1_PKPS1_EviT3_lT4_lT_li.numbered_sgpr, 16
	.set _ZL19rocblas_scal_kernelIiLi256E19rocblas_complex_numIdES1_S1_PKPS1_EviT3_lT4_lT_li.num_named_barrier, 0
	.set _ZL19rocblas_scal_kernelIiLi256E19rocblas_complex_numIdES1_S1_PKPS1_EviT3_lT4_lT_li.private_seg_size, 0
	.set _ZL19rocblas_scal_kernelIiLi256E19rocblas_complex_numIdES1_S1_PKPS1_EviT3_lT4_lT_li.uses_vcc, 1
	.set _ZL19rocblas_scal_kernelIiLi256E19rocblas_complex_numIdES1_S1_PKPS1_EviT3_lT4_lT_li.uses_flat_scratch, 0
	.set _ZL19rocblas_scal_kernelIiLi256E19rocblas_complex_numIdES1_S1_PKPS1_EviT3_lT4_lT_li.has_dyn_sized_stack, 0
	.set _ZL19rocblas_scal_kernelIiLi256E19rocblas_complex_numIdES1_S1_PKPS1_EviT3_lT4_lT_li.has_recursion, 0
	.set _ZL19rocblas_scal_kernelIiLi256E19rocblas_complex_numIdES1_S1_PKPS1_EviT3_lT4_lT_li.has_indirect_call, 0
	.section	.AMDGPU.csdata,"",@progbits
; Kernel info:
; codeLenInByte = 224
; TotalNumSgprs: 20
; NumVgprs: 10
; ScratchSize: 0
; MemoryBound: 0
; FloatMode: 240
; IeeeMode: 1
; LDSByteSize: 0 bytes/workgroup (compile time only)
; SGPRBlocks: 2
; VGPRBlocks: 2
; NumSGPRsForWavesPerEU: 20
; NumVGPRsForWavesPerEU: 10
; Occupancy: 10
; WaveLimiterHint : 1
; COMPUTE_PGM_RSRC2:SCRATCH_EN: 0
; COMPUTE_PGM_RSRC2:USER_SGPR: 6
; COMPUTE_PGM_RSRC2:TRAP_HANDLER: 0
; COMPUTE_PGM_RSRC2:TGID_X_EN: 1
; COMPUTE_PGM_RSRC2:TGID_Y_EN: 0
; COMPUTE_PGM_RSRC2:TGID_Z_EN: 1
; COMPUTE_PGM_RSRC2:TIDIG_COMP_CNT: 0
	.section	.text._ZL19rocblas_scal_kernelIlLi256E19rocblas_complex_numIdES1_PKS1_PKPS1_EviT3_lT4_lT_li,"axG",@progbits,_ZL19rocblas_scal_kernelIlLi256E19rocblas_complex_numIdES1_PKS1_PKPS1_EviT3_lT4_lT_li,comdat
	.globl	_ZL19rocblas_scal_kernelIlLi256E19rocblas_complex_numIdES1_PKS1_PKPS1_EviT3_lT4_lT_li ; -- Begin function _ZL19rocblas_scal_kernelIlLi256E19rocblas_complex_numIdES1_PKS1_PKPS1_EviT3_lT4_lT_li
	.p2align	8
	.type	_ZL19rocblas_scal_kernelIlLi256E19rocblas_complex_numIdES1_PKS1_PKPS1_EviT3_lT4_lT_li,@function
_ZL19rocblas_scal_kernelIlLi256E19rocblas_complex_numIdES1_PKS1_PKPS1_EviT3_lT4_lT_li: ; @_ZL19rocblas_scal_kernelIlLi256E19rocblas_complex_numIdES1_PKS1_PKPS1_EviT3_lT4_lT_li
; %bb.0:
	s_load_dwordx8 s[8:15], s[4:5], 0x8
	s_load_dword s17, s[4:5], 0x0
	v_lshl_or_b32 v0, s6, 8, v0
	s_mov_b32 s16, s7
	s_waitcnt lgkmcnt(0)
	s_mul_i32 s0, s11, s7
	s_mul_hi_u32 s1, s10, s7
	s_add_i32 s1, s1, s0
	s_mul_i32 s0, s10, s7
	s_lshl_b64 s[0:1], s[0:1], 4
	s_add_u32 s8, s8, s0
	s_addc_u32 s9, s9, s1
	s_load_dwordx4 s[0:3], s[8:9], 0x0
	v_cmp_gt_u32_e32 vcc, s17, v0
	s_waitcnt lgkmcnt(0)
	v_cmp_neq_f64_e64 s[8:9], s[0:1], 1.0
	v_cmp_neq_f64_e64 s[10:11], s[2:3], 0
	s_or_b64 s[6:7], s[8:9], s[10:11]
	s_and_b64 s[6:7], vcc, s[6:7]
	s_and_saveexec_b64 s[8:9], s[6:7]
	s_cbranch_execz .LBB62_2
; %bb.1:
	s_load_dwordx2 s[4:5], s[4:5], 0x28
	s_mov_b32 s17, 0
	s_lshl_b64 s[6:7], s[16:17], 3
	s_add_u32 s6, s12, s6
	s_addc_u32 s7, s13, s7
	s_waitcnt lgkmcnt(0)
	v_mad_u64_u32 v[1:2], s[8:9], s4, v0, 0
	s_load_dwordx2 s[6:7], s[6:7], 0x0
	v_mad_u64_u32 v[2:3], s[4:5], s5, v0, v[2:3]
	s_lshl_b64 s[4:5], s[14:15], 4
	s_waitcnt lgkmcnt(0)
	s_add_u32 s4, s6, s4
	v_lshlrev_b64 v[0:1], 4, v[1:2]
	s_addc_u32 s5, s7, s5
	v_mov_b32_e32 v2, s5
	v_add_co_u32_e32 v6, vcc, s4, v0
	v_addc_co_u32_e32 v7, vcc, v2, v1, vcc
	flat_load_dwordx4 v[0:3], v[6:7]
	s_waitcnt vmcnt(0) lgkmcnt(0)
	v_mul_f64 v[4:5], s[2:3], v[2:3]
	v_mul_f64 v[8:9], s[0:1], v[2:3]
	v_fma_f64 v[2:3], s[0:1], v[0:1], -v[4:5]
	v_fma_f64 v[4:5], s[2:3], v[0:1], v[8:9]
	flat_store_dwordx4 v[6:7], v[2:5]
.LBB62_2:
	s_endpgm
	.section	.rodata,"a",@progbits
	.p2align	6, 0x0
	.amdhsa_kernel _ZL19rocblas_scal_kernelIlLi256E19rocblas_complex_numIdES1_PKS1_PKPS1_EviT3_lT4_lT_li
		.amdhsa_group_segment_fixed_size 0
		.amdhsa_private_segment_fixed_size 0
		.amdhsa_kernarg_size 60
		.amdhsa_user_sgpr_count 6
		.amdhsa_user_sgpr_private_segment_buffer 1
		.amdhsa_user_sgpr_dispatch_ptr 0
		.amdhsa_user_sgpr_queue_ptr 0
		.amdhsa_user_sgpr_kernarg_segment_ptr 1
		.amdhsa_user_sgpr_dispatch_id 0
		.amdhsa_user_sgpr_flat_scratch_init 0
		.amdhsa_user_sgpr_private_segment_size 0
		.amdhsa_uses_dynamic_stack 0
		.amdhsa_system_sgpr_private_segment_wavefront_offset 0
		.amdhsa_system_sgpr_workgroup_id_x 1
		.amdhsa_system_sgpr_workgroup_id_y 0
		.amdhsa_system_sgpr_workgroup_id_z 1
		.amdhsa_system_sgpr_workgroup_info 0
		.amdhsa_system_vgpr_workitem_id 0
		.amdhsa_next_free_vgpr 10
		.amdhsa_next_free_sgpr 18
		.amdhsa_reserve_vcc 1
		.amdhsa_reserve_flat_scratch 0
		.amdhsa_float_round_mode_32 0
		.amdhsa_float_round_mode_16_64 0
		.amdhsa_float_denorm_mode_32 3
		.amdhsa_float_denorm_mode_16_64 3
		.amdhsa_dx10_clamp 1
		.amdhsa_ieee_mode 1
		.amdhsa_fp16_overflow 0
		.amdhsa_exception_fp_ieee_invalid_op 0
		.amdhsa_exception_fp_denorm_src 0
		.amdhsa_exception_fp_ieee_div_zero 0
		.amdhsa_exception_fp_ieee_overflow 0
		.amdhsa_exception_fp_ieee_underflow 0
		.amdhsa_exception_fp_ieee_inexact 0
		.amdhsa_exception_int_div_zero 0
	.end_amdhsa_kernel
	.section	.text._ZL19rocblas_scal_kernelIlLi256E19rocblas_complex_numIdES1_PKS1_PKPS1_EviT3_lT4_lT_li,"axG",@progbits,_ZL19rocblas_scal_kernelIlLi256E19rocblas_complex_numIdES1_PKS1_PKPS1_EviT3_lT4_lT_li,comdat
.Lfunc_end62:
	.size	_ZL19rocblas_scal_kernelIlLi256E19rocblas_complex_numIdES1_PKS1_PKPS1_EviT3_lT4_lT_li, .Lfunc_end62-_ZL19rocblas_scal_kernelIlLi256E19rocblas_complex_numIdES1_PKS1_PKPS1_EviT3_lT4_lT_li
                                        ; -- End function
	.set _ZL19rocblas_scal_kernelIlLi256E19rocblas_complex_numIdES1_PKS1_PKPS1_EviT3_lT4_lT_li.num_vgpr, 10
	.set _ZL19rocblas_scal_kernelIlLi256E19rocblas_complex_numIdES1_PKS1_PKPS1_EviT3_lT4_lT_li.num_agpr, 0
	.set _ZL19rocblas_scal_kernelIlLi256E19rocblas_complex_numIdES1_PKS1_PKPS1_EviT3_lT4_lT_li.numbered_sgpr, 18
	.set _ZL19rocblas_scal_kernelIlLi256E19rocblas_complex_numIdES1_PKS1_PKPS1_EviT3_lT4_lT_li.num_named_barrier, 0
	.set _ZL19rocblas_scal_kernelIlLi256E19rocblas_complex_numIdES1_PKS1_PKPS1_EviT3_lT4_lT_li.private_seg_size, 0
	.set _ZL19rocblas_scal_kernelIlLi256E19rocblas_complex_numIdES1_PKS1_PKPS1_EviT3_lT4_lT_li.uses_vcc, 1
	.set _ZL19rocblas_scal_kernelIlLi256E19rocblas_complex_numIdES1_PKS1_PKPS1_EviT3_lT4_lT_li.uses_flat_scratch, 0
	.set _ZL19rocblas_scal_kernelIlLi256E19rocblas_complex_numIdES1_PKS1_PKPS1_EviT3_lT4_lT_li.has_dyn_sized_stack, 0
	.set _ZL19rocblas_scal_kernelIlLi256E19rocblas_complex_numIdES1_PKS1_PKPS1_EviT3_lT4_lT_li.has_recursion, 0
	.set _ZL19rocblas_scal_kernelIlLi256E19rocblas_complex_numIdES1_PKS1_PKPS1_EviT3_lT4_lT_li.has_indirect_call, 0
	.section	.AMDGPU.csdata,"",@progbits
; Kernel info:
; codeLenInByte = 252
; TotalNumSgprs: 22
; NumVgprs: 10
; ScratchSize: 0
; MemoryBound: 0
; FloatMode: 240
; IeeeMode: 1
; LDSByteSize: 0 bytes/workgroup (compile time only)
; SGPRBlocks: 2
; VGPRBlocks: 2
; NumSGPRsForWavesPerEU: 22
; NumVGPRsForWavesPerEU: 10
; Occupancy: 10
; WaveLimiterHint : 1
; COMPUTE_PGM_RSRC2:SCRATCH_EN: 0
; COMPUTE_PGM_RSRC2:USER_SGPR: 6
; COMPUTE_PGM_RSRC2:TRAP_HANDLER: 0
; COMPUTE_PGM_RSRC2:TGID_X_EN: 1
; COMPUTE_PGM_RSRC2:TGID_Y_EN: 0
; COMPUTE_PGM_RSRC2:TGID_Z_EN: 1
; COMPUTE_PGM_RSRC2:TIDIG_COMP_CNT: 0
	.section	.text._ZL19rocblas_scal_kernelIlLi256E19rocblas_complex_numIdES1_S1_PKPS1_EviT3_lT4_lT_li,"axG",@progbits,_ZL19rocblas_scal_kernelIlLi256E19rocblas_complex_numIdES1_S1_PKPS1_EviT3_lT4_lT_li,comdat
	.globl	_ZL19rocblas_scal_kernelIlLi256E19rocblas_complex_numIdES1_S1_PKPS1_EviT3_lT4_lT_li ; -- Begin function _ZL19rocblas_scal_kernelIlLi256E19rocblas_complex_numIdES1_S1_PKPS1_EviT3_lT4_lT_li
	.p2align	8
	.type	_ZL19rocblas_scal_kernelIlLi256E19rocblas_complex_numIdES1_S1_PKPS1_EviT3_lT4_lT_li,@function
_ZL19rocblas_scal_kernelIlLi256E19rocblas_complex_numIdES1_S1_PKPS1_EviT3_lT4_lT_li: ; @_ZL19rocblas_scal_kernelIlLi256E19rocblas_complex_numIdES1_S1_PKPS1_EviT3_lT4_lT_li
; %bb.0:
	s_load_dwordx4 s[0:3], s[4:5], 0x8
	s_load_dword s9, s[4:5], 0x0
	v_lshl_or_b32 v0, s6, 8, v0
	s_mov_b32 s8, s7
	s_waitcnt lgkmcnt(0)
	v_cmp_neq_f64_e64 s[10:11], s[0:1], 1.0
	v_cmp_neq_f64_e64 s[12:13], s[2:3], 0
	v_cmp_gt_u32_e32 vcc, s9, v0
	s_or_b64 s[6:7], s[10:11], s[12:13]
	s_and_b64 s[6:7], vcc, s[6:7]
	s_and_saveexec_b64 s[10:11], s[6:7]
	s_cbranch_execz .LBB63_2
; %bb.1:
	s_load_dwordx2 s[6:7], s[4:5], 0x30
	s_load_dwordx4 s[12:15], s[4:5], 0x20
	s_mov_b32 s9, 0
	s_lshl_b64 s[4:5], s[8:9], 3
	s_waitcnt lgkmcnt(0)
	v_mad_u64_u32 v[1:2], s[8:9], s6, v0, 0
	s_add_u32 s4, s12, s4
	s_addc_u32 s5, s13, s5
	s_load_dwordx2 s[4:5], s[4:5], 0x0
	v_mad_u64_u32 v[2:3], s[6:7], s7, v0, v[2:3]
	s_lshl_b64 s[6:7], s[14:15], 4
	s_waitcnt lgkmcnt(0)
	s_add_u32 s4, s4, s6
	v_lshlrev_b64 v[0:1], 4, v[1:2]
	s_addc_u32 s5, s5, s7
	v_mov_b32_e32 v2, s5
	v_add_co_u32_e32 v6, vcc, s4, v0
	v_addc_co_u32_e32 v7, vcc, v2, v1, vcc
	flat_load_dwordx4 v[0:3], v[6:7]
	s_waitcnt vmcnt(0) lgkmcnt(0)
	v_mul_f64 v[4:5], s[2:3], v[2:3]
	v_mul_f64 v[8:9], s[0:1], v[2:3]
	v_fma_f64 v[2:3], s[0:1], v[0:1], -v[4:5]
	v_fma_f64 v[4:5], s[2:3], v[0:1], v[8:9]
	flat_store_dwordx4 v[6:7], v[2:5]
.LBB63_2:
	s_endpgm
	.section	.rodata,"a",@progbits
	.p2align	6, 0x0
	.amdhsa_kernel _ZL19rocblas_scal_kernelIlLi256E19rocblas_complex_numIdES1_S1_PKPS1_EviT3_lT4_lT_li
		.amdhsa_group_segment_fixed_size 0
		.amdhsa_private_segment_fixed_size 0
		.amdhsa_kernarg_size 68
		.amdhsa_user_sgpr_count 6
		.amdhsa_user_sgpr_private_segment_buffer 1
		.amdhsa_user_sgpr_dispatch_ptr 0
		.amdhsa_user_sgpr_queue_ptr 0
		.amdhsa_user_sgpr_kernarg_segment_ptr 1
		.amdhsa_user_sgpr_dispatch_id 0
		.amdhsa_user_sgpr_flat_scratch_init 0
		.amdhsa_user_sgpr_private_segment_size 0
		.amdhsa_uses_dynamic_stack 0
		.amdhsa_system_sgpr_private_segment_wavefront_offset 0
		.amdhsa_system_sgpr_workgroup_id_x 1
		.amdhsa_system_sgpr_workgroup_id_y 0
		.amdhsa_system_sgpr_workgroup_id_z 1
		.amdhsa_system_sgpr_workgroup_info 0
		.amdhsa_system_vgpr_workitem_id 0
		.amdhsa_next_free_vgpr 10
		.amdhsa_next_free_sgpr 16
		.amdhsa_reserve_vcc 1
		.amdhsa_reserve_flat_scratch 0
		.amdhsa_float_round_mode_32 0
		.amdhsa_float_round_mode_16_64 0
		.amdhsa_float_denorm_mode_32 3
		.amdhsa_float_denorm_mode_16_64 3
		.amdhsa_dx10_clamp 1
		.amdhsa_ieee_mode 1
		.amdhsa_fp16_overflow 0
		.amdhsa_exception_fp_ieee_invalid_op 0
		.amdhsa_exception_fp_denorm_src 0
		.amdhsa_exception_fp_ieee_div_zero 0
		.amdhsa_exception_fp_ieee_overflow 0
		.amdhsa_exception_fp_ieee_underflow 0
		.amdhsa_exception_fp_ieee_inexact 0
		.amdhsa_exception_int_div_zero 0
	.end_amdhsa_kernel
	.section	.text._ZL19rocblas_scal_kernelIlLi256E19rocblas_complex_numIdES1_S1_PKPS1_EviT3_lT4_lT_li,"axG",@progbits,_ZL19rocblas_scal_kernelIlLi256E19rocblas_complex_numIdES1_S1_PKPS1_EviT3_lT4_lT_li,comdat
.Lfunc_end63:
	.size	_ZL19rocblas_scal_kernelIlLi256E19rocblas_complex_numIdES1_S1_PKPS1_EviT3_lT4_lT_li, .Lfunc_end63-_ZL19rocblas_scal_kernelIlLi256E19rocblas_complex_numIdES1_S1_PKPS1_EviT3_lT4_lT_li
                                        ; -- End function
	.set _ZL19rocblas_scal_kernelIlLi256E19rocblas_complex_numIdES1_S1_PKPS1_EviT3_lT4_lT_li.num_vgpr, 10
	.set _ZL19rocblas_scal_kernelIlLi256E19rocblas_complex_numIdES1_S1_PKPS1_EviT3_lT4_lT_li.num_agpr, 0
	.set _ZL19rocblas_scal_kernelIlLi256E19rocblas_complex_numIdES1_S1_PKPS1_EviT3_lT4_lT_li.numbered_sgpr, 16
	.set _ZL19rocblas_scal_kernelIlLi256E19rocblas_complex_numIdES1_S1_PKPS1_EviT3_lT4_lT_li.num_named_barrier, 0
	.set _ZL19rocblas_scal_kernelIlLi256E19rocblas_complex_numIdES1_S1_PKPS1_EviT3_lT4_lT_li.private_seg_size, 0
	.set _ZL19rocblas_scal_kernelIlLi256E19rocblas_complex_numIdES1_S1_PKPS1_EviT3_lT4_lT_li.uses_vcc, 1
	.set _ZL19rocblas_scal_kernelIlLi256E19rocblas_complex_numIdES1_S1_PKPS1_EviT3_lT4_lT_li.uses_flat_scratch, 0
	.set _ZL19rocblas_scal_kernelIlLi256E19rocblas_complex_numIdES1_S1_PKPS1_EviT3_lT4_lT_li.has_dyn_sized_stack, 0
	.set _ZL19rocblas_scal_kernelIlLi256E19rocblas_complex_numIdES1_S1_PKPS1_EviT3_lT4_lT_li.has_recursion, 0
	.set _ZL19rocblas_scal_kernelIlLi256E19rocblas_complex_numIdES1_S1_PKPS1_EviT3_lT4_lT_li.has_indirect_call, 0
	.section	.AMDGPU.csdata,"",@progbits
; Kernel info:
; codeLenInByte = 220
; TotalNumSgprs: 20
; NumVgprs: 10
; ScratchSize: 0
; MemoryBound: 0
; FloatMode: 240
; IeeeMode: 1
; LDSByteSize: 0 bytes/workgroup (compile time only)
; SGPRBlocks: 2
; VGPRBlocks: 2
; NumSGPRsForWavesPerEU: 20
; NumVGPRsForWavesPerEU: 10
; Occupancy: 10
; WaveLimiterHint : 1
; COMPUTE_PGM_RSRC2:SCRATCH_EN: 0
; COMPUTE_PGM_RSRC2:USER_SGPR: 6
; COMPUTE_PGM_RSRC2:TRAP_HANDLER: 0
; COMPUTE_PGM_RSRC2:TGID_X_EN: 1
; COMPUTE_PGM_RSRC2:TGID_Y_EN: 0
; COMPUTE_PGM_RSRC2:TGID_Z_EN: 1
; COMPUTE_PGM_RSRC2:TIDIG_COMP_CNT: 0
	.section	.text._ZL22rocblas_sscal_2_kernelILi256E19rocblas_complex_numIfES1_PKfPKPS1_EviT2_lT3_lli,"axG",@progbits,_ZL22rocblas_sscal_2_kernelILi256E19rocblas_complex_numIfES1_PKfPKPS1_EviT2_lT3_lli,comdat
	.globl	_ZL22rocblas_sscal_2_kernelILi256E19rocblas_complex_numIfES1_PKfPKPS1_EviT2_lT3_lli ; -- Begin function _ZL22rocblas_sscal_2_kernelILi256E19rocblas_complex_numIfES1_PKfPKPS1_EviT2_lT3_lli
	.p2align	8
	.type	_ZL22rocblas_sscal_2_kernelILi256E19rocblas_complex_numIfES1_PKfPKPS1_EviT2_lT3_lli,@function
_ZL22rocblas_sscal_2_kernelILi256E19rocblas_complex_numIfES1_PKfPKPS1_EviT2_lT3_lli: ; @_ZL22rocblas_sscal_2_kernelILi256E19rocblas_complex_numIfES1_PKfPKPS1_EviT2_lT3_lli
; %bb.0:
	s_load_dwordx4 s[8:11], s[4:5], 0x8
	s_waitcnt lgkmcnt(0)
	s_mul_i32 s1, s11, s7
	s_mul_hi_u32 s2, s10, s7
	s_add_i32 s3, s2, s1
	s_mul_i32 s2, s10, s7
	s_lshl_b64 s[2:3], s[2:3], 2
	s_add_u32 s2, s8, s2
	s_addc_u32 s3, s9, s3
	s_load_dword s2, s[2:3], 0x0
	s_waitcnt lgkmcnt(0)
	v_cmp_eq_f32_e64 s[8:9], s2, 1.0
	s_and_b64 vcc, exec, s[8:9]
	s_cbranch_vccnz .LBB64_5
; %bb.1:
	s_load_dwordx4 s[8:11], s[4:5], 0x18
	s_load_dword s3, s[4:5], 0x0
	s_mov_b32 s0, s7
	s_mov_b32 s1, 0
	s_lshl_b64 s[0:1], s[0:1], 3
	s_waitcnt lgkmcnt(0)
	s_add_u32 s0, s8, s0
	s_addc_u32 s1, s9, s1
	s_load_dwordx2 s[0:1], s[0:1], 0x0
	v_lshlrev_b32_e32 v0, 1, v0
	v_lshl_or_b32 v0, s6, 9, v0
	s_lshl_b64 s[4:5], s[10:11], 3
	v_or_b32_e32 v1, 1, v0
	s_waitcnt lgkmcnt(0)
	s_add_u32 s4, s0, s4
	s_addc_u32 s5, s1, s5
	v_cmp_gt_u32_e32 vcc, s3, v1
	s_and_saveexec_b64 s[0:1], vcc
	s_cbranch_execz .LBB64_3
; %bb.2:
	v_mov_b32_e32 v1, 0
	v_lshlrev_b64 v[1:2], 3, v[0:1]
	v_mov_b32_e32 v3, s5
	v_add_co_u32_e32 v8, vcc, s4, v1
	v_addc_co_u32_e32 v9, vcc, v3, v2, vcc
	flat_load_dwordx4 v[1:4], v[8:9]
	s_waitcnt vmcnt(0) lgkmcnt(0)
	v_mul_f32_e32 v6, 0, v2
	v_mul_f32_e32 v5, s2, v2
	;; [unrolled: 1-line block ×4, first 2 shown]
	v_fma_f32 v4, s2, v1, -v6
	v_fmac_f32_e32 v5, 0, v1
	v_fma_f32 v6, s2, v3, -v2
	v_fmac_f32_e32 v7, 0, v3
	flat_store_dwordx4 v[8:9], v[4:7]
.LBB64_3:
	s_or_b64 exec, exec, s[0:1]
	s_bitcmp1_b32 s3, 0
	s_cselect_b64 s[0:1], -1, 0
	s_add_i32 s3, s3, -1
	v_cmp_eq_u32_e32 vcc, s3, v0
	s_and_b64 s[0:1], s[0:1], vcc
	s_and_saveexec_b64 s[6:7], s[0:1]
	s_cbranch_execz .LBB64_5
; %bb.4:
	v_mov_b32_e32 v1, 0
	v_lshlrev_b64 v[0:1], 3, v[0:1]
	v_mov_b32_e32 v2, s5
	v_add_co_u32_e32 v0, vcc, s4, v0
	v_addc_co_u32_e32 v1, vcc, v2, v1, vcc
	flat_load_dwordx2 v[2:3], v[0:1]
	s_waitcnt vmcnt(0) lgkmcnt(0)
	v_mul_f32_e32 v5, 0, v3
	v_mul_f32_e32 v4, s2, v3
	v_fma_f32 v3, s2, v2, -v5
	v_fmac_f32_e32 v4, 0, v2
	flat_store_dwordx2 v[0:1], v[3:4]
.LBB64_5:
	s_endpgm
	.section	.rodata,"a",@progbits
	.p2align	6, 0x0
	.amdhsa_kernel _ZL22rocblas_sscal_2_kernelILi256E19rocblas_complex_numIfES1_PKfPKPS1_EviT2_lT3_lli
		.amdhsa_group_segment_fixed_size 0
		.amdhsa_private_segment_fixed_size 0
		.amdhsa_kernarg_size 52
		.amdhsa_user_sgpr_count 6
		.amdhsa_user_sgpr_private_segment_buffer 1
		.amdhsa_user_sgpr_dispatch_ptr 0
		.amdhsa_user_sgpr_queue_ptr 0
		.amdhsa_user_sgpr_kernarg_segment_ptr 1
		.amdhsa_user_sgpr_dispatch_id 0
		.amdhsa_user_sgpr_flat_scratch_init 0
		.amdhsa_user_sgpr_private_segment_size 0
		.amdhsa_uses_dynamic_stack 0
		.amdhsa_system_sgpr_private_segment_wavefront_offset 0
		.amdhsa_system_sgpr_workgroup_id_x 1
		.amdhsa_system_sgpr_workgroup_id_y 0
		.amdhsa_system_sgpr_workgroup_id_z 1
		.amdhsa_system_sgpr_workgroup_info 0
		.amdhsa_system_vgpr_workitem_id 0
		.amdhsa_next_free_vgpr 10
		.amdhsa_next_free_sgpr 12
		.amdhsa_reserve_vcc 1
		.amdhsa_reserve_flat_scratch 0
		.amdhsa_float_round_mode_32 0
		.amdhsa_float_round_mode_16_64 0
		.amdhsa_float_denorm_mode_32 3
		.amdhsa_float_denorm_mode_16_64 3
		.amdhsa_dx10_clamp 1
		.amdhsa_ieee_mode 1
		.amdhsa_fp16_overflow 0
		.amdhsa_exception_fp_ieee_invalid_op 0
		.amdhsa_exception_fp_denorm_src 0
		.amdhsa_exception_fp_ieee_div_zero 0
		.amdhsa_exception_fp_ieee_overflow 0
		.amdhsa_exception_fp_ieee_underflow 0
		.amdhsa_exception_fp_ieee_inexact 0
		.amdhsa_exception_int_div_zero 0
	.end_amdhsa_kernel
	.section	.text._ZL22rocblas_sscal_2_kernelILi256E19rocblas_complex_numIfES1_PKfPKPS1_EviT2_lT3_lli,"axG",@progbits,_ZL22rocblas_sscal_2_kernelILi256E19rocblas_complex_numIfES1_PKfPKPS1_EviT2_lT3_lli,comdat
.Lfunc_end64:
	.size	_ZL22rocblas_sscal_2_kernelILi256E19rocblas_complex_numIfES1_PKfPKPS1_EviT2_lT3_lli, .Lfunc_end64-_ZL22rocblas_sscal_2_kernelILi256E19rocblas_complex_numIfES1_PKfPKPS1_EviT2_lT3_lli
                                        ; -- End function
	.set _ZL22rocblas_sscal_2_kernelILi256E19rocblas_complex_numIfES1_PKfPKPS1_EviT2_lT3_lli.num_vgpr, 10
	.set _ZL22rocblas_sscal_2_kernelILi256E19rocblas_complex_numIfES1_PKfPKPS1_EviT2_lT3_lli.num_agpr, 0
	.set _ZL22rocblas_sscal_2_kernelILi256E19rocblas_complex_numIfES1_PKfPKPS1_EviT2_lT3_lli.numbered_sgpr, 12
	.set _ZL22rocblas_sscal_2_kernelILi256E19rocblas_complex_numIfES1_PKfPKPS1_EviT2_lT3_lli.num_named_barrier, 0
	.set _ZL22rocblas_sscal_2_kernelILi256E19rocblas_complex_numIfES1_PKfPKPS1_EviT2_lT3_lli.private_seg_size, 0
	.set _ZL22rocblas_sscal_2_kernelILi256E19rocblas_complex_numIfES1_PKfPKPS1_EviT2_lT3_lli.uses_vcc, 1
	.set _ZL22rocblas_sscal_2_kernelILi256E19rocblas_complex_numIfES1_PKfPKPS1_EviT2_lT3_lli.uses_flat_scratch, 0
	.set _ZL22rocblas_sscal_2_kernelILi256E19rocblas_complex_numIfES1_PKfPKPS1_EviT2_lT3_lli.has_dyn_sized_stack, 0
	.set _ZL22rocblas_sscal_2_kernelILi256E19rocblas_complex_numIfES1_PKfPKPS1_EviT2_lT3_lli.has_recursion, 0
	.set _ZL22rocblas_sscal_2_kernelILi256E19rocblas_complex_numIfES1_PKfPKPS1_EviT2_lT3_lli.has_indirect_call, 0
	.section	.AMDGPU.csdata,"",@progbits
; Kernel info:
; codeLenInByte = 344
; TotalNumSgprs: 16
; NumVgprs: 10
; ScratchSize: 0
; MemoryBound: 0
; FloatMode: 240
; IeeeMode: 1
; LDSByteSize: 0 bytes/workgroup (compile time only)
; SGPRBlocks: 1
; VGPRBlocks: 2
; NumSGPRsForWavesPerEU: 16
; NumVGPRsForWavesPerEU: 10
; Occupancy: 10
; WaveLimiterHint : 1
; COMPUTE_PGM_RSRC2:SCRATCH_EN: 0
; COMPUTE_PGM_RSRC2:USER_SGPR: 6
; COMPUTE_PGM_RSRC2:TRAP_HANDLER: 0
; COMPUTE_PGM_RSRC2:TGID_X_EN: 1
; COMPUTE_PGM_RSRC2:TGID_Y_EN: 0
; COMPUTE_PGM_RSRC2:TGID_Z_EN: 1
; COMPUTE_PGM_RSRC2:TIDIG_COMP_CNT: 0
	.section	.text._ZL22rocblas_sscal_2_kernelILi256E19rocblas_complex_numIfES1_fPKPS1_EviT2_lT3_lli,"axG",@progbits,_ZL22rocblas_sscal_2_kernelILi256E19rocblas_complex_numIfES1_fPKPS1_EviT2_lT3_lli,comdat
	.globl	_ZL22rocblas_sscal_2_kernelILi256E19rocblas_complex_numIfES1_fPKPS1_EviT2_lT3_lli ; -- Begin function _ZL22rocblas_sscal_2_kernelILi256E19rocblas_complex_numIfES1_fPKPS1_EviT2_lT3_lli
	.p2align	8
	.type	_ZL22rocblas_sscal_2_kernelILi256E19rocblas_complex_numIfES1_fPKPS1_EviT2_lT3_lli,@function
_ZL22rocblas_sscal_2_kernelILi256E19rocblas_complex_numIfES1_fPKPS1_EviT2_lT3_lli: ; @_ZL22rocblas_sscal_2_kernelILi256E19rocblas_complex_numIfES1_fPKPS1_EviT2_lT3_lli
; %bb.0:
	s_load_dwordx2 s[0:1], s[4:5], 0x0
	s_waitcnt lgkmcnt(0)
	v_cmp_eq_f32_e64 s[8:9], s1, 1.0
	s_and_b64 vcc, exec, s[8:9]
	s_cbranch_vccnz .LBB65_5
; %bb.1:
	s_load_dwordx4 s[8:11], s[4:5], 0x10
	s_mov_b32 s2, s7
	s_mov_b32 s3, 0
	s_lshl_b64 s[2:3], s[2:3], 3
	v_lshlrev_b32_e32 v0, 1, v0
	s_waitcnt lgkmcnt(0)
	s_add_u32 s2, s8, s2
	s_addc_u32 s3, s9, s3
	s_load_dwordx2 s[2:3], s[2:3], 0x0
	v_lshl_or_b32 v0, s6, 9, v0
	s_lshl_b64 s[4:5], s[10:11], 3
	v_or_b32_e32 v1, 1, v0
	v_cmp_gt_u32_e32 vcc, s0, v1
	s_waitcnt lgkmcnt(0)
	s_add_u32 s4, s2, s4
	s_addc_u32 s5, s3, s5
	s_and_saveexec_b64 s[2:3], vcc
	s_cbranch_execz .LBB65_3
; %bb.2:
	v_mov_b32_e32 v1, 0
	v_lshlrev_b64 v[1:2], 3, v[0:1]
	v_mov_b32_e32 v3, s5
	v_add_co_u32_e32 v8, vcc, s4, v1
	v_addc_co_u32_e32 v9, vcc, v3, v2, vcc
	flat_load_dwordx4 v[1:4], v[8:9]
	s_waitcnt vmcnt(0) lgkmcnt(0)
	v_mul_f32_e32 v6, 0, v2
	v_mul_f32_e32 v5, s1, v2
	;; [unrolled: 1-line block ×4, first 2 shown]
	v_fma_f32 v4, s1, v1, -v6
	v_fmac_f32_e32 v5, 0, v1
	v_fma_f32 v6, s1, v3, -v2
	v_fmac_f32_e32 v7, 0, v3
	flat_store_dwordx4 v[8:9], v[4:7]
.LBB65_3:
	s_or_b64 exec, exec, s[2:3]
	s_bitcmp1_b32 s0, 0
	s_cselect_b64 s[2:3], -1, 0
	s_add_i32 s0, s0, -1
	v_cmp_eq_u32_e32 vcc, s0, v0
	s_and_b64 s[2:3], s[2:3], vcc
	s_and_saveexec_b64 s[6:7], s[2:3]
	s_cbranch_execz .LBB65_5
; %bb.4:
	v_mov_b32_e32 v1, 0
	v_lshlrev_b64 v[0:1], 3, v[0:1]
	v_mov_b32_e32 v2, s5
	v_add_co_u32_e32 v0, vcc, s4, v0
	v_addc_co_u32_e32 v1, vcc, v2, v1, vcc
	flat_load_dwordx2 v[2:3], v[0:1]
	s_waitcnt vmcnt(0) lgkmcnt(0)
	v_mul_f32_e32 v5, 0, v3
	v_mul_f32_e32 v4, s1, v3
	v_fma_f32 v3, s1, v2, -v5
	v_fmac_f32_e32 v4, 0, v2
	flat_store_dwordx2 v[0:1], v[3:4]
.LBB65_5:
	s_endpgm
	.section	.rodata,"a",@progbits
	.p2align	6, 0x0
	.amdhsa_kernel _ZL22rocblas_sscal_2_kernelILi256E19rocblas_complex_numIfES1_fPKPS1_EviT2_lT3_lli
		.amdhsa_group_segment_fixed_size 0
		.amdhsa_private_segment_fixed_size 0
		.amdhsa_kernarg_size 44
		.amdhsa_user_sgpr_count 6
		.amdhsa_user_sgpr_private_segment_buffer 1
		.amdhsa_user_sgpr_dispatch_ptr 0
		.amdhsa_user_sgpr_queue_ptr 0
		.amdhsa_user_sgpr_kernarg_segment_ptr 1
		.amdhsa_user_sgpr_dispatch_id 0
		.amdhsa_user_sgpr_flat_scratch_init 0
		.amdhsa_user_sgpr_private_segment_size 0
		.amdhsa_uses_dynamic_stack 0
		.amdhsa_system_sgpr_private_segment_wavefront_offset 0
		.amdhsa_system_sgpr_workgroup_id_x 1
		.amdhsa_system_sgpr_workgroup_id_y 0
		.amdhsa_system_sgpr_workgroup_id_z 1
		.amdhsa_system_sgpr_workgroup_info 0
		.amdhsa_system_vgpr_workitem_id 0
		.amdhsa_next_free_vgpr 10
		.amdhsa_next_free_sgpr 12
		.amdhsa_reserve_vcc 1
		.amdhsa_reserve_flat_scratch 0
		.amdhsa_float_round_mode_32 0
		.amdhsa_float_round_mode_16_64 0
		.amdhsa_float_denorm_mode_32 3
		.amdhsa_float_denorm_mode_16_64 3
		.amdhsa_dx10_clamp 1
		.amdhsa_ieee_mode 1
		.amdhsa_fp16_overflow 0
		.amdhsa_exception_fp_ieee_invalid_op 0
		.amdhsa_exception_fp_denorm_src 0
		.amdhsa_exception_fp_ieee_div_zero 0
		.amdhsa_exception_fp_ieee_overflow 0
		.amdhsa_exception_fp_ieee_underflow 0
		.amdhsa_exception_fp_ieee_inexact 0
		.amdhsa_exception_int_div_zero 0
	.end_amdhsa_kernel
	.section	.text._ZL22rocblas_sscal_2_kernelILi256E19rocblas_complex_numIfES1_fPKPS1_EviT2_lT3_lli,"axG",@progbits,_ZL22rocblas_sscal_2_kernelILi256E19rocblas_complex_numIfES1_fPKPS1_EviT2_lT3_lli,comdat
.Lfunc_end65:
	.size	_ZL22rocblas_sscal_2_kernelILi256E19rocblas_complex_numIfES1_fPKPS1_EviT2_lT3_lli, .Lfunc_end65-_ZL22rocblas_sscal_2_kernelILi256E19rocblas_complex_numIfES1_fPKPS1_EviT2_lT3_lli
                                        ; -- End function
	.set _ZL22rocblas_sscal_2_kernelILi256E19rocblas_complex_numIfES1_fPKPS1_EviT2_lT3_lli.num_vgpr, 10
	.set _ZL22rocblas_sscal_2_kernelILi256E19rocblas_complex_numIfES1_fPKPS1_EviT2_lT3_lli.num_agpr, 0
	.set _ZL22rocblas_sscal_2_kernelILi256E19rocblas_complex_numIfES1_fPKPS1_EviT2_lT3_lli.numbered_sgpr, 12
	.set _ZL22rocblas_sscal_2_kernelILi256E19rocblas_complex_numIfES1_fPKPS1_EviT2_lT3_lli.num_named_barrier, 0
	.set _ZL22rocblas_sscal_2_kernelILi256E19rocblas_complex_numIfES1_fPKPS1_EviT2_lT3_lli.private_seg_size, 0
	.set _ZL22rocblas_sscal_2_kernelILi256E19rocblas_complex_numIfES1_fPKPS1_EviT2_lT3_lli.uses_vcc, 1
	.set _ZL22rocblas_sscal_2_kernelILi256E19rocblas_complex_numIfES1_fPKPS1_EviT2_lT3_lli.uses_flat_scratch, 0
	.set _ZL22rocblas_sscal_2_kernelILi256E19rocblas_complex_numIfES1_fPKPS1_EviT2_lT3_lli.has_dyn_sized_stack, 0
	.set _ZL22rocblas_sscal_2_kernelILi256E19rocblas_complex_numIfES1_fPKPS1_EviT2_lT3_lli.has_recursion, 0
	.set _ZL22rocblas_sscal_2_kernelILi256E19rocblas_complex_numIfES1_fPKPS1_EviT2_lT3_lli.has_indirect_call, 0
	.section	.AMDGPU.csdata,"",@progbits
; Kernel info:
; codeLenInByte = 296
; TotalNumSgprs: 16
; NumVgprs: 10
; ScratchSize: 0
; MemoryBound: 0
; FloatMode: 240
; IeeeMode: 1
; LDSByteSize: 0 bytes/workgroup (compile time only)
; SGPRBlocks: 1
; VGPRBlocks: 2
; NumSGPRsForWavesPerEU: 16
; NumVGPRsForWavesPerEU: 10
; Occupancy: 10
; WaveLimiterHint : 1
; COMPUTE_PGM_RSRC2:SCRATCH_EN: 0
; COMPUTE_PGM_RSRC2:USER_SGPR: 6
; COMPUTE_PGM_RSRC2:TRAP_HANDLER: 0
; COMPUTE_PGM_RSRC2:TGID_X_EN: 1
; COMPUTE_PGM_RSRC2:TGID_Y_EN: 0
; COMPUTE_PGM_RSRC2:TGID_Z_EN: 1
; COMPUTE_PGM_RSRC2:TIDIG_COMP_CNT: 0
	.section	.text._ZL19rocblas_scal_kernelIiLi256E19rocblas_complex_numIfES1_PKfPKPS1_EviT3_lT4_lT_li,"axG",@progbits,_ZL19rocblas_scal_kernelIiLi256E19rocblas_complex_numIfES1_PKfPKPS1_EviT3_lT4_lT_li,comdat
	.globl	_ZL19rocblas_scal_kernelIiLi256E19rocblas_complex_numIfES1_PKfPKPS1_EviT3_lT4_lT_li ; -- Begin function _ZL19rocblas_scal_kernelIiLi256E19rocblas_complex_numIfES1_PKfPKPS1_EviT3_lT4_lT_li
	.p2align	8
	.type	_ZL19rocblas_scal_kernelIiLi256E19rocblas_complex_numIfES1_PKfPKPS1_EviT3_lT4_lT_li,@function
_ZL19rocblas_scal_kernelIiLi256E19rocblas_complex_numIfES1_PKfPKPS1_EviT3_lT4_lT_li: ; @_ZL19rocblas_scal_kernelIiLi256E19rocblas_complex_numIfES1_PKfPKPS1_EviT3_lT4_lT_li
; %bb.0:
	s_load_dwordx8 s[8:15], s[4:5], 0x8
	v_lshl_or_b32 v0, s6, 8, v0
	s_mov_b32 s0, s7
	s_waitcnt lgkmcnt(0)
	s_mul_i32 s1, s11, s7
	s_mul_hi_u32 s2, s10, s7
	s_add_i32 s3, s2, s1
	s_mul_i32 s2, s10, s7
	s_lshl_b64 s[2:3], s[2:3], 2
	s_add_u32 s8, s8, s2
	s_addc_u32 s9, s9, s3
	s_load_dword s2, s[8:9], 0x0
	s_load_dword s1, s[4:5], 0x0
	s_waitcnt lgkmcnt(0)
	v_cmp_neq_f32_e64 s[6:7], s2, 1.0
	v_cmp_gt_u32_e32 vcc, s1, v0
	s_and_b64 s[6:7], vcc, s[6:7]
	s_and_saveexec_b64 s[8:9], s[6:7]
	s_cbranch_execz .LBB66_2
; %bb.1:
	s_load_dword s3, s[4:5], 0x28
	s_mov_b32 s1, 0
	s_lshl_b64 s[0:1], s[0:1], 3
	s_waitcnt lgkmcnt(0)
	s_ashr_i32 s6, s3, 31
	v_mad_u64_u32 v[1:2], s[4:5], s3, v0, 0
	s_add_u32 s0, s12, s0
	s_addc_u32 s1, s13, s1
	s_load_dwordx2 s[0:1], s[0:1], 0x0
	v_mad_u64_u32 v[2:3], s[4:5], s6, v0, v[2:3]
	s_lshl_b64 s[4:5], s[14:15], 3
	s_waitcnt lgkmcnt(0)
	s_add_u32 s0, s0, s4
	v_lshlrev_b64 v[0:1], 3, v[1:2]
	s_addc_u32 s1, s1, s5
	v_mov_b32_e32 v2, s1
	v_add_co_u32_e32 v0, vcc, s0, v0
	v_addc_co_u32_e32 v1, vcc, v2, v1, vcc
	flat_load_dwordx2 v[2:3], v[0:1]
	s_waitcnt vmcnt(0) lgkmcnt(0)
	v_mul_f32_e32 v5, 0, v3
	v_mul_f32_e32 v4, s2, v3
	v_fma_f32 v3, s2, v2, -v5
	v_fmac_f32_e32 v4, 0, v2
	flat_store_dwordx2 v[0:1], v[3:4]
.LBB66_2:
	s_endpgm
	.section	.rodata,"a",@progbits
	.p2align	6, 0x0
	.amdhsa_kernel _ZL19rocblas_scal_kernelIiLi256E19rocblas_complex_numIfES1_PKfPKPS1_EviT3_lT4_lT_li
		.amdhsa_group_segment_fixed_size 0
		.amdhsa_private_segment_fixed_size 0
		.amdhsa_kernarg_size 60
		.amdhsa_user_sgpr_count 6
		.amdhsa_user_sgpr_private_segment_buffer 1
		.amdhsa_user_sgpr_dispatch_ptr 0
		.amdhsa_user_sgpr_queue_ptr 0
		.amdhsa_user_sgpr_kernarg_segment_ptr 1
		.amdhsa_user_sgpr_dispatch_id 0
		.amdhsa_user_sgpr_flat_scratch_init 0
		.amdhsa_user_sgpr_private_segment_size 0
		.amdhsa_uses_dynamic_stack 0
		.amdhsa_system_sgpr_private_segment_wavefront_offset 0
		.amdhsa_system_sgpr_workgroup_id_x 1
		.amdhsa_system_sgpr_workgroup_id_y 0
		.amdhsa_system_sgpr_workgroup_id_z 1
		.amdhsa_system_sgpr_workgroup_info 0
		.amdhsa_system_vgpr_workitem_id 0
		.amdhsa_next_free_vgpr 6
		.amdhsa_next_free_sgpr 16
		.amdhsa_reserve_vcc 1
		.amdhsa_reserve_flat_scratch 0
		.amdhsa_float_round_mode_32 0
		.amdhsa_float_round_mode_16_64 0
		.amdhsa_float_denorm_mode_32 3
		.amdhsa_float_denorm_mode_16_64 3
		.amdhsa_dx10_clamp 1
		.amdhsa_ieee_mode 1
		.amdhsa_fp16_overflow 0
		.amdhsa_exception_fp_ieee_invalid_op 0
		.amdhsa_exception_fp_denorm_src 0
		.amdhsa_exception_fp_ieee_div_zero 0
		.amdhsa_exception_fp_ieee_overflow 0
		.amdhsa_exception_fp_ieee_underflow 0
		.amdhsa_exception_fp_ieee_inexact 0
		.amdhsa_exception_int_div_zero 0
	.end_amdhsa_kernel
	.section	.text._ZL19rocblas_scal_kernelIiLi256E19rocblas_complex_numIfES1_PKfPKPS1_EviT3_lT4_lT_li,"axG",@progbits,_ZL19rocblas_scal_kernelIiLi256E19rocblas_complex_numIfES1_PKfPKPS1_EviT3_lT4_lT_li,comdat
.Lfunc_end66:
	.size	_ZL19rocblas_scal_kernelIiLi256E19rocblas_complex_numIfES1_PKfPKPS1_EviT3_lT4_lT_li, .Lfunc_end66-_ZL19rocblas_scal_kernelIiLi256E19rocblas_complex_numIfES1_PKfPKPS1_EviT3_lT4_lT_li
                                        ; -- End function
	.set _ZL19rocblas_scal_kernelIiLi256E19rocblas_complex_numIfES1_PKfPKPS1_EviT3_lT4_lT_li.num_vgpr, 6
	.set _ZL19rocblas_scal_kernelIiLi256E19rocblas_complex_numIfES1_PKfPKPS1_EviT3_lT4_lT_li.num_agpr, 0
	.set _ZL19rocblas_scal_kernelIiLi256E19rocblas_complex_numIfES1_PKfPKPS1_EviT3_lT4_lT_li.numbered_sgpr, 16
	.set _ZL19rocblas_scal_kernelIiLi256E19rocblas_complex_numIfES1_PKfPKPS1_EviT3_lT4_lT_li.num_named_barrier, 0
	.set _ZL19rocblas_scal_kernelIiLi256E19rocblas_complex_numIfES1_PKfPKPS1_EviT3_lT4_lT_li.private_seg_size, 0
	.set _ZL19rocblas_scal_kernelIiLi256E19rocblas_complex_numIfES1_PKfPKPS1_EviT3_lT4_lT_li.uses_vcc, 1
	.set _ZL19rocblas_scal_kernelIiLi256E19rocblas_complex_numIfES1_PKfPKPS1_EviT3_lT4_lT_li.uses_flat_scratch, 0
	.set _ZL19rocblas_scal_kernelIiLi256E19rocblas_complex_numIfES1_PKfPKPS1_EviT3_lT4_lT_li.has_dyn_sized_stack, 0
	.set _ZL19rocblas_scal_kernelIiLi256E19rocblas_complex_numIfES1_PKfPKPS1_EviT3_lT4_lT_li.has_recursion, 0
	.set _ZL19rocblas_scal_kernelIiLi256E19rocblas_complex_numIfES1_PKfPKPS1_EviT3_lT4_lT_li.has_indirect_call, 0
	.section	.AMDGPU.csdata,"",@progbits
; Kernel info:
; codeLenInByte = 232
; TotalNumSgprs: 20
; NumVgprs: 6
; ScratchSize: 0
; MemoryBound: 0
; FloatMode: 240
; IeeeMode: 1
; LDSByteSize: 0 bytes/workgroup (compile time only)
; SGPRBlocks: 2
; VGPRBlocks: 1
; NumSGPRsForWavesPerEU: 20
; NumVGPRsForWavesPerEU: 6
; Occupancy: 10
; WaveLimiterHint : 1
; COMPUTE_PGM_RSRC2:SCRATCH_EN: 0
; COMPUTE_PGM_RSRC2:USER_SGPR: 6
; COMPUTE_PGM_RSRC2:TRAP_HANDLER: 0
; COMPUTE_PGM_RSRC2:TGID_X_EN: 1
; COMPUTE_PGM_RSRC2:TGID_Y_EN: 0
; COMPUTE_PGM_RSRC2:TGID_Z_EN: 1
; COMPUTE_PGM_RSRC2:TIDIG_COMP_CNT: 0
	.section	.text._ZL19rocblas_scal_kernelIiLi256E19rocblas_complex_numIfES1_fPKPS1_EviT3_lT4_lT_li,"axG",@progbits,_ZL19rocblas_scal_kernelIiLi256E19rocblas_complex_numIfES1_fPKPS1_EviT3_lT4_lT_li,comdat
	.globl	_ZL19rocblas_scal_kernelIiLi256E19rocblas_complex_numIfES1_fPKPS1_EviT3_lT4_lT_li ; -- Begin function _ZL19rocblas_scal_kernelIiLi256E19rocblas_complex_numIfES1_fPKPS1_EviT3_lT4_lT_li
	.p2align	8
	.type	_ZL19rocblas_scal_kernelIiLi256E19rocblas_complex_numIfES1_fPKPS1_EviT3_lT4_lT_li,@function
_ZL19rocblas_scal_kernelIiLi256E19rocblas_complex_numIfES1_fPKPS1_EviT3_lT4_lT_li: ; @_ZL19rocblas_scal_kernelIiLi256E19rocblas_complex_numIfES1_fPKPS1_EviT3_lT4_lT_li
; %bb.0:
	s_load_dwordx2 s[0:1], s[4:5], 0x0
	v_lshl_or_b32 v0, s6, 8, v0
	s_mov_b32 s2, s7
	s_waitcnt lgkmcnt(0)
	v_cmp_neq_f32_e64 s[6:7], s1, 1.0
	v_cmp_gt_u32_e32 vcc, s0, v0
	s_and_b64 s[6:7], vcc, s[6:7]
	s_and_saveexec_b64 s[8:9], s[6:7]
	s_cbranch_execz .LBB67_2
; %bb.1:
	s_load_dword s0, s[4:5], 0x20
	s_load_dwordx4 s[8:11], s[4:5], 0x10
	s_mov_b32 s3, 0
	s_lshl_b64 s[2:3], s[2:3], 3
	s_waitcnt lgkmcnt(0)
	s_ashr_i32 s6, s0, 31
	v_mad_u64_u32 v[1:2], s[4:5], s0, v0, 0
	s_add_u32 s2, s8, s2
	s_addc_u32 s3, s9, s3
	s_load_dwordx2 s[2:3], s[2:3], 0x0
	v_mad_u64_u32 v[2:3], s[4:5], s6, v0, v[2:3]
	s_lshl_b64 s[4:5], s[10:11], 3
	s_waitcnt lgkmcnt(0)
	s_add_u32 s0, s2, s4
	v_lshlrev_b64 v[0:1], 3, v[1:2]
	s_addc_u32 s2, s3, s5
	v_mov_b32_e32 v2, s2
	v_add_co_u32_e32 v0, vcc, s0, v0
	v_addc_co_u32_e32 v1, vcc, v2, v1, vcc
	flat_load_dwordx2 v[2:3], v[0:1]
	s_waitcnt vmcnt(0) lgkmcnt(0)
	v_mul_f32_e32 v5, 0, v3
	v_mul_f32_e32 v4, s1, v3
	v_fma_f32 v3, s1, v2, -v5
	v_fmac_f32_e32 v4, 0, v2
	flat_store_dwordx2 v[0:1], v[3:4]
.LBB67_2:
	s_endpgm
	.section	.rodata,"a",@progbits
	.p2align	6, 0x0
	.amdhsa_kernel _ZL19rocblas_scal_kernelIiLi256E19rocblas_complex_numIfES1_fPKPS1_EviT3_lT4_lT_li
		.amdhsa_group_segment_fixed_size 0
		.amdhsa_private_segment_fixed_size 0
		.amdhsa_kernarg_size 52
		.amdhsa_user_sgpr_count 6
		.amdhsa_user_sgpr_private_segment_buffer 1
		.amdhsa_user_sgpr_dispatch_ptr 0
		.amdhsa_user_sgpr_queue_ptr 0
		.amdhsa_user_sgpr_kernarg_segment_ptr 1
		.amdhsa_user_sgpr_dispatch_id 0
		.amdhsa_user_sgpr_flat_scratch_init 0
		.amdhsa_user_sgpr_private_segment_size 0
		.amdhsa_uses_dynamic_stack 0
		.amdhsa_system_sgpr_private_segment_wavefront_offset 0
		.amdhsa_system_sgpr_workgroup_id_x 1
		.amdhsa_system_sgpr_workgroup_id_y 0
		.amdhsa_system_sgpr_workgroup_id_z 1
		.amdhsa_system_sgpr_workgroup_info 0
		.amdhsa_system_vgpr_workitem_id 0
		.amdhsa_next_free_vgpr 6
		.amdhsa_next_free_sgpr 12
		.amdhsa_reserve_vcc 1
		.amdhsa_reserve_flat_scratch 0
		.amdhsa_float_round_mode_32 0
		.amdhsa_float_round_mode_16_64 0
		.amdhsa_float_denorm_mode_32 3
		.amdhsa_float_denorm_mode_16_64 3
		.amdhsa_dx10_clamp 1
		.amdhsa_ieee_mode 1
		.amdhsa_fp16_overflow 0
		.amdhsa_exception_fp_ieee_invalid_op 0
		.amdhsa_exception_fp_denorm_src 0
		.amdhsa_exception_fp_ieee_div_zero 0
		.amdhsa_exception_fp_ieee_overflow 0
		.amdhsa_exception_fp_ieee_underflow 0
		.amdhsa_exception_fp_ieee_inexact 0
		.amdhsa_exception_int_div_zero 0
	.end_amdhsa_kernel
	.section	.text._ZL19rocblas_scal_kernelIiLi256E19rocblas_complex_numIfES1_fPKPS1_EviT3_lT4_lT_li,"axG",@progbits,_ZL19rocblas_scal_kernelIiLi256E19rocblas_complex_numIfES1_fPKPS1_EviT3_lT4_lT_li,comdat
.Lfunc_end67:
	.size	_ZL19rocblas_scal_kernelIiLi256E19rocblas_complex_numIfES1_fPKPS1_EviT3_lT4_lT_li, .Lfunc_end67-_ZL19rocblas_scal_kernelIiLi256E19rocblas_complex_numIfES1_fPKPS1_EviT3_lT4_lT_li
                                        ; -- End function
	.set _ZL19rocblas_scal_kernelIiLi256E19rocblas_complex_numIfES1_fPKPS1_EviT3_lT4_lT_li.num_vgpr, 6
	.set _ZL19rocblas_scal_kernelIiLi256E19rocblas_complex_numIfES1_fPKPS1_EviT3_lT4_lT_li.num_agpr, 0
	.set _ZL19rocblas_scal_kernelIiLi256E19rocblas_complex_numIfES1_fPKPS1_EviT3_lT4_lT_li.numbered_sgpr, 12
	.set _ZL19rocblas_scal_kernelIiLi256E19rocblas_complex_numIfES1_fPKPS1_EviT3_lT4_lT_li.num_named_barrier, 0
	.set _ZL19rocblas_scal_kernelIiLi256E19rocblas_complex_numIfES1_fPKPS1_EviT3_lT4_lT_li.private_seg_size, 0
	.set _ZL19rocblas_scal_kernelIiLi256E19rocblas_complex_numIfES1_fPKPS1_EviT3_lT4_lT_li.uses_vcc, 1
	.set _ZL19rocblas_scal_kernelIiLi256E19rocblas_complex_numIfES1_fPKPS1_EviT3_lT4_lT_li.uses_flat_scratch, 0
	.set _ZL19rocblas_scal_kernelIiLi256E19rocblas_complex_numIfES1_fPKPS1_EviT3_lT4_lT_li.has_dyn_sized_stack, 0
	.set _ZL19rocblas_scal_kernelIiLi256E19rocblas_complex_numIfES1_fPKPS1_EviT3_lT4_lT_li.has_recursion, 0
	.set _ZL19rocblas_scal_kernelIiLi256E19rocblas_complex_numIfES1_fPKPS1_EviT3_lT4_lT_li.has_indirect_call, 0
	.section	.AMDGPU.csdata,"",@progbits
; Kernel info:
; codeLenInByte = 192
; TotalNumSgprs: 16
; NumVgprs: 6
; ScratchSize: 0
; MemoryBound: 0
; FloatMode: 240
; IeeeMode: 1
; LDSByteSize: 0 bytes/workgroup (compile time only)
; SGPRBlocks: 1
; VGPRBlocks: 1
; NumSGPRsForWavesPerEU: 16
; NumVGPRsForWavesPerEU: 6
; Occupancy: 10
; WaveLimiterHint : 1
; COMPUTE_PGM_RSRC2:SCRATCH_EN: 0
; COMPUTE_PGM_RSRC2:USER_SGPR: 6
; COMPUTE_PGM_RSRC2:TRAP_HANDLER: 0
; COMPUTE_PGM_RSRC2:TGID_X_EN: 1
; COMPUTE_PGM_RSRC2:TGID_Y_EN: 0
; COMPUTE_PGM_RSRC2:TGID_Z_EN: 1
; COMPUTE_PGM_RSRC2:TIDIG_COMP_CNT: 0
	.section	.text._ZL19rocblas_scal_kernelIlLi256E19rocblas_complex_numIfES1_PKfPKPS1_EviT3_lT4_lT_li,"axG",@progbits,_ZL19rocblas_scal_kernelIlLi256E19rocblas_complex_numIfES1_PKfPKPS1_EviT3_lT4_lT_li,comdat
	.globl	_ZL19rocblas_scal_kernelIlLi256E19rocblas_complex_numIfES1_PKfPKPS1_EviT3_lT4_lT_li ; -- Begin function _ZL19rocblas_scal_kernelIlLi256E19rocblas_complex_numIfES1_PKfPKPS1_EviT3_lT4_lT_li
	.p2align	8
	.type	_ZL19rocblas_scal_kernelIlLi256E19rocblas_complex_numIfES1_PKfPKPS1_EviT3_lT4_lT_li,@function
_ZL19rocblas_scal_kernelIlLi256E19rocblas_complex_numIfES1_PKfPKPS1_EviT3_lT4_lT_li: ; @_ZL19rocblas_scal_kernelIlLi256E19rocblas_complex_numIfES1_PKfPKPS1_EviT3_lT4_lT_li
; %bb.0:
	s_load_dwordx8 s[8:15], s[4:5], 0x8
	v_lshl_or_b32 v0, s6, 8, v0
	s_mov_b32 s0, s7
	s_waitcnt lgkmcnt(0)
	s_mul_i32 s1, s11, s7
	s_mul_hi_u32 s2, s10, s7
	s_add_i32 s3, s2, s1
	s_mul_i32 s2, s10, s7
	s_lshl_b64 s[2:3], s[2:3], 2
	s_add_u32 s8, s8, s2
	s_addc_u32 s9, s9, s3
	s_load_dword s2, s[8:9], 0x0
	s_load_dword s1, s[4:5], 0x0
	s_waitcnt lgkmcnt(0)
	v_cmp_neq_f32_e64 s[6:7], s2, 1.0
	v_cmp_gt_u32_e32 vcc, s1, v0
	s_and_b64 s[6:7], vcc, s[6:7]
	s_and_saveexec_b64 s[8:9], s[6:7]
	s_cbranch_execz .LBB68_2
; %bb.1:
	s_load_dwordx2 s[4:5], s[4:5], 0x28
	s_mov_b32 s1, 0
	s_lshl_b64 s[0:1], s[0:1], 3
	s_add_u32 s0, s12, s0
	s_addc_u32 s1, s13, s1
	s_waitcnt lgkmcnt(0)
	v_mad_u64_u32 v[1:2], s[6:7], s4, v0, 0
	s_load_dwordx2 s[0:1], s[0:1], 0x0
	v_mad_u64_u32 v[2:3], s[4:5], s5, v0, v[2:3]
	s_lshl_b64 s[4:5], s[14:15], 3
	s_waitcnt lgkmcnt(0)
	s_add_u32 s0, s0, s4
	v_lshlrev_b64 v[0:1], 3, v[1:2]
	s_addc_u32 s1, s1, s5
	v_mov_b32_e32 v2, s1
	v_add_co_u32_e32 v0, vcc, s0, v0
	v_addc_co_u32_e32 v1, vcc, v2, v1, vcc
	flat_load_dwordx2 v[2:3], v[0:1]
	s_waitcnt vmcnt(0) lgkmcnt(0)
	v_mul_f32_e32 v5, 0, v3
	v_mul_f32_e32 v4, s2, v3
	v_fma_f32 v3, s2, v2, -v5
	v_fmac_f32_e32 v4, 0, v2
	flat_store_dwordx2 v[0:1], v[3:4]
.LBB68_2:
	s_endpgm
	.section	.rodata,"a",@progbits
	.p2align	6, 0x0
	.amdhsa_kernel _ZL19rocblas_scal_kernelIlLi256E19rocblas_complex_numIfES1_PKfPKPS1_EviT3_lT4_lT_li
		.amdhsa_group_segment_fixed_size 0
		.amdhsa_private_segment_fixed_size 0
		.amdhsa_kernarg_size 60
		.amdhsa_user_sgpr_count 6
		.amdhsa_user_sgpr_private_segment_buffer 1
		.amdhsa_user_sgpr_dispatch_ptr 0
		.amdhsa_user_sgpr_queue_ptr 0
		.amdhsa_user_sgpr_kernarg_segment_ptr 1
		.amdhsa_user_sgpr_dispatch_id 0
		.amdhsa_user_sgpr_flat_scratch_init 0
		.amdhsa_user_sgpr_private_segment_size 0
		.amdhsa_uses_dynamic_stack 0
		.amdhsa_system_sgpr_private_segment_wavefront_offset 0
		.amdhsa_system_sgpr_workgroup_id_x 1
		.amdhsa_system_sgpr_workgroup_id_y 0
		.amdhsa_system_sgpr_workgroup_id_z 1
		.amdhsa_system_sgpr_workgroup_info 0
		.amdhsa_system_vgpr_workitem_id 0
		.amdhsa_next_free_vgpr 6
		.amdhsa_next_free_sgpr 16
		.amdhsa_reserve_vcc 1
		.amdhsa_reserve_flat_scratch 0
		.amdhsa_float_round_mode_32 0
		.amdhsa_float_round_mode_16_64 0
		.amdhsa_float_denorm_mode_32 3
		.amdhsa_float_denorm_mode_16_64 3
		.amdhsa_dx10_clamp 1
		.amdhsa_ieee_mode 1
		.amdhsa_fp16_overflow 0
		.amdhsa_exception_fp_ieee_invalid_op 0
		.amdhsa_exception_fp_denorm_src 0
		.amdhsa_exception_fp_ieee_div_zero 0
		.amdhsa_exception_fp_ieee_overflow 0
		.amdhsa_exception_fp_ieee_underflow 0
		.amdhsa_exception_fp_ieee_inexact 0
		.amdhsa_exception_int_div_zero 0
	.end_amdhsa_kernel
	.section	.text._ZL19rocblas_scal_kernelIlLi256E19rocblas_complex_numIfES1_PKfPKPS1_EviT3_lT4_lT_li,"axG",@progbits,_ZL19rocblas_scal_kernelIlLi256E19rocblas_complex_numIfES1_PKfPKPS1_EviT3_lT4_lT_li,comdat
.Lfunc_end68:
	.size	_ZL19rocblas_scal_kernelIlLi256E19rocblas_complex_numIfES1_PKfPKPS1_EviT3_lT4_lT_li, .Lfunc_end68-_ZL19rocblas_scal_kernelIlLi256E19rocblas_complex_numIfES1_PKfPKPS1_EviT3_lT4_lT_li
                                        ; -- End function
	.set _ZL19rocblas_scal_kernelIlLi256E19rocblas_complex_numIfES1_PKfPKPS1_EviT3_lT4_lT_li.num_vgpr, 6
	.set _ZL19rocblas_scal_kernelIlLi256E19rocblas_complex_numIfES1_PKfPKPS1_EviT3_lT4_lT_li.num_agpr, 0
	.set _ZL19rocblas_scal_kernelIlLi256E19rocblas_complex_numIfES1_PKfPKPS1_EviT3_lT4_lT_li.numbered_sgpr, 16
	.set _ZL19rocblas_scal_kernelIlLi256E19rocblas_complex_numIfES1_PKfPKPS1_EviT3_lT4_lT_li.num_named_barrier, 0
	.set _ZL19rocblas_scal_kernelIlLi256E19rocblas_complex_numIfES1_PKfPKPS1_EviT3_lT4_lT_li.private_seg_size, 0
	.set _ZL19rocblas_scal_kernelIlLi256E19rocblas_complex_numIfES1_PKfPKPS1_EviT3_lT4_lT_li.uses_vcc, 1
	.set _ZL19rocblas_scal_kernelIlLi256E19rocblas_complex_numIfES1_PKfPKPS1_EviT3_lT4_lT_li.uses_flat_scratch, 0
	.set _ZL19rocblas_scal_kernelIlLi256E19rocblas_complex_numIfES1_PKfPKPS1_EviT3_lT4_lT_li.has_dyn_sized_stack, 0
	.set _ZL19rocblas_scal_kernelIlLi256E19rocblas_complex_numIfES1_PKfPKPS1_EviT3_lT4_lT_li.has_recursion, 0
	.set _ZL19rocblas_scal_kernelIlLi256E19rocblas_complex_numIfES1_PKfPKPS1_EviT3_lT4_lT_li.has_indirect_call, 0
	.section	.AMDGPU.csdata,"",@progbits
; Kernel info:
; codeLenInByte = 228
; TotalNumSgprs: 20
; NumVgprs: 6
; ScratchSize: 0
; MemoryBound: 0
; FloatMode: 240
; IeeeMode: 1
; LDSByteSize: 0 bytes/workgroup (compile time only)
; SGPRBlocks: 2
; VGPRBlocks: 1
; NumSGPRsForWavesPerEU: 20
; NumVGPRsForWavesPerEU: 6
; Occupancy: 10
; WaveLimiterHint : 1
; COMPUTE_PGM_RSRC2:SCRATCH_EN: 0
; COMPUTE_PGM_RSRC2:USER_SGPR: 6
; COMPUTE_PGM_RSRC2:TRAP_HANDLER: 0
; COMPUTE_PGM_RSRC2:TGID_X_EN: 1
; COMPUTE_PGM_RSRC2:TGID_Y_EN: 0
; COMPUTE_PGM_RSRC2:TGID_Z_EN: 1
; COMPUTE_PGM_RSRC2:TIDIG_COMP_CNT: 0
	.section	.text._ZL19rocblas_scal_kernelIlLi256E19rocblas_complex_numIfES1_fPKPS1_EviT3_lT4_lT_li,"axG",@progbits,_ZL19rocblas_scal_kernelIlLi256E19rocblas_complex_numIfES1_fPKPS1_EviT3_lT4_lT_li,comdat
	.globl	_ZL19rocblas_scal_kernelIlLi256E19rocblas_complex_numIfES1_fPKPS1_EviT3_lT4_lT_li ; -- Begin function _ZL19rocblas_scal_kernelIlLi256E19rocblas_complex_numIfES1_fPKPS1_EviT3_lT4_lT_li
	.p2align	8
	.type	_ZL19rocblas_scal_kernelIlLi256E19rocblas_complex_numIfES1_fPKPS1_EviT3_lT4_lT_li,@function
_ZL19rocblas_scal_kernelIlLi256E19rocblas_complex_numIfES1_fPKPS1_EviT3_lT4_lT_li: ; @_ZL19rocblas_scal_kernelIlLi256E19rocblas_complex_numIfES1_fPKPS1_EviT3_lT4_lT_li
; %bb.0:
	s_load_dwordx2 s[0:1], s[4:5], 0x0
	v_lshl_or_b32 v0, s6, 8, v0
	s_mov_b32 s2, s7
	s_waitcnt lgkmcnt(0)
	v_cmp_neq_f32_e64 s[6:7], s1, 1.0
	v_cmp_gt_u32_e32 vcc, s0, v0
	s_and_b64 s[6:7], vcc, s[6:7]
	s_and_saveexec_b64 s[8:9], s[6:7]
	s_cbranch_execz .LBB69_2
; %bb.1:
	s_load_dwordx2 s[6:7], s[4:5], 0x20
	s_load_dwordx4 s[8:11], s[4:5], 0x10
	s_mov_b32 s3, 0
	s_lshl_b64 s[2:3], s[2:3], 3
	s_waitcnt lgkmcnt(0)
	v_mad_u64_u32 v[1:2], s[4:5], s6, v0, 0
	s_add_u32 s2, s8, s2
	s_addc_u32 s3, s9, s3
	s_load_dwordx2 s[2:3], s[2:3], 0x0
	v_mad_u64_u32 v[2:3], s[4:5], s7, v0, v[2:3]
	s_lshl_b64 s[4:5], s[10:11], 3
	s_waitcnt lgkmcnt(0)
	s_add_u32 s0, s2, s4
	v_lshlrev_b64 v[0:1], 3, v[1:2]
	s_addc_u32 s2, s3, s5
	v_mov_b32_e32 v2, s2
	v_add_co_u32_e32 v0, vcc, s0, v0
	v_addc_co_u32_e32 v1, vcc, v2, v1, vcc
	flat_load_dwordx2 v[2:3], v[0:1]
	s_waitcnt vmcnt(0) lgkmcnt(0)
	v_mul_f32_e32 v5, 0, v3
	v_mul_f32_e32 v4, s1, v3
	v_fma_f32 v3, s1, v2, -v5
	v_fmac_f32_e32 v4, 0, v2
	flat_store_dwordx2 v[0:1], v[3:4]
.LBB69_2:
	s_endpgm
	.section	.rodata,"a",@progbits
	.p2align	6, 0x0
	.amdhsa_kernel _ZL19rocblas_scal_kernelIlLi256E19rocblas_complex_numIfES1_fPKPS1_EviT3_lT4_lT_li
		.amdhsa_group_segment_fixed_size 0
		.amdhsa_private_segment_fixed_size 0
		.amdhsa_kernarg_size 52
		.amdhsa_user_sgpr_count 6
		.amdhsa_user_sgpr_private_segment_buffer 1
		.amdhsa_user_sgpr_dispatch_ptr 0
		.amdhsa_user_sgpr_queue_ptr 0
		.amdhsa_user_sgpr_kernarg_segment_ptr 1
		.amdhsa_user_sgpr_dispatch_id 0
		.amdhsa_user_sgpr_flat_scratch_init 0
		.amdhsa_user_sgpr_private_segment_size 0
		.amdhsa_uses_dynamic_stack 0
		.amdhsa_system_sgpr_private_segment_wavefront_offset 0
		.amdhsa_system_sgpr_workgroup_id_x 1
		.amdhsa_system_sgpr_workgroup_id_y 0
		.amdhsa_system_sgpr_workgroup_id_z 1
		.amdhsa_system_sgpr_workgroup_info 0
		.amdhsa_system_vgpr_workitem_id 0
		.amdhsa_next_free_vgpr 6
		.amdhsa_next_free_sgpr 12
		.amdhsa_reserve_vcc 1
		.amdhsa_reserve_flat_scratch 0
		.amdhsa_float_round_mode_32 0
		.amdhsa_float_round_mode_16_64 0
		.amdhsa_float_denorm_mode_32 3
		.amdhsa_float_denorm_mode_16_64 3
		.amdhsa_dx10_clamp 1
		.amdhsa_ieee_mode 1
		.amdhsa_fp16_overflow 0
		.amdhsa_exception_fp_ieee_invalid_op 0
		.amdhsa_exception_fp_denorm_src 0
		.amdhsa_exception_fp_ieee_div_zero 0
		.amdhsa_exception_fp_ieee_overflow 0
		.amdhsa_exception_fp_ieee_underflow 0
		.amdhsa_exception_fp_ieee_inexact 0
		.amdhsa_exception_int_div_zero 0
	.end_amdhsa_kernel
	.section	.text._ZL19rocblas_scal_kernelIlLi256E19rocblas_complex_numIfES1_fPKPS1_EviT3_lT4_lT_li,"axG",@progbits,_ZL19rocblas_scal_kernelIlLi256E19rocblas_complex_numIfES1_fPKPS1_EviT3_lT4_lT_li,comdat
.Lfunc_end69:
	.size	_ZL19rocblas_scal_kernelIlLi256E19rocblas_complex_numIfES1_fPKPS1_EviT3_lT4_lT_li, .Lfunc_end69-_ZL19rocblas_scal_kernelIlLi256E19rocblas_complex_numIfES1_fPKPS1_EviT3_lT4_lT_li
                                        ; -- End function
	.set _ZL19rocblas_scal_kernelIlLi256E19rocblas_complex_numIfES1_fPKPS1_EviT3_lT4_lT_li.num_vgpr, 6
	.set _ZL19rocblas_scal_kernelIlLi256E19rocblas_complex_numIfES1_fPKPS1_EviT3_lT4_lT_li.num_agpr, 0
	.set _ZL19rocblas_scal_kernelIlLi256E19rocblas_complex_numIfES1_fPKPS1_EviT3_lT4_lT_li.numbered_sgpr, 12
	.set _ZL19rocblas_scal_kernelIlLi256E19rocblas_complex_numIfES1_fPKPS1_EviT3_lT4_lT_li.num_named_barrier, 0
	.set _ZL19rocblas_scal_kernelIlLi256E19rocblas_complex_numIfES1_fPKPS1_EviT3_lT4_lT_li.private_seg_size, 0
	.set _ZL19rocblas_scal_kernelIlLi256E19rocblas_complex_numIfES1_fPKPS1_EviT3_lT4_lT_li.uses_vcc, 1
	.set _ZL19rocblas_scal_kernelIlLi256E19rocblas_complex_numIfES1_fPKPS1_EviT3_lT4_lT_li.uses_flat_scratch, 0
	.set _ZL19rocblas_scal_kernelIlLi256E19rocblas_complex_numIfES1_fPKPS1_EviT3_lT4_lT_li.has_dyn_sized_stack, 0
	.set _ZL19rocblas_scal_kernelIlLi256E19rocblas_complex_numIfES1_fPKPS1_EviT3_lT4_lT_li.has_recursion, 0
	.set _ZL19rocblas_scal_kernelIlLi256E19rocblas_complex_numIfES1_fPKPS1_EviT3_lT4_lT_li.has_indirect_call, 0
	.section	.AMDGPU.csdata,"",@progbits
; Kernel info:
; codeLenInByte = 188
; TotalNumSgprs: 16
; NumVgprs: 6
; ScratchSize: 0
; MemoryBound: 0
; FloatMode: 240
; IeeeMode: 1
; LDSByteSize: 0 bytes/workgroup (compile time only)
; SGPRBlocks: 1
; VGPRBlocks: 1
; NumSGPRsForWavesPerEU: 16
; NumVGPRsForWavesPerEU: 6
; Occupancy: 10
; WaveLimiterHint : 1
; COMPUTE_PGM_RSRC2:SCRATCH_EN: 0
; COMPUTE_PGM_RSRC2:USER_SGPR: 6
; COMPUTE_PGM_RSRC2:TRAP_HANDLER: 0
; COMPUTE_PGM_RSRC2:TGID_X_EN: 1
; COMPUTE_PGM_RSRC2:TGID_Y_EN: 0
; COMPUTE_PGM_RSRC2:TGID_Z_EN: 1
; COMPUTE_PGM_RSRC2:TIDIG_COMP_CNT: 0
	.section	.text._ZL22rocblas_sscal_2_kernelILi256E19rocblas_complex_numIdES1_PKdPKPS1_EviT2_lT3_lli,"axG",@progbits,_ZL22rocblas_sscal_2_kernelILi256E19rocblas_complex_numIdES1_PKdPKPS1_EviT2_lT3_lli,comdat
	.globl	_ZL22rocblas_sscal_2_kernelILi256E19rocblas_complex_numIdES1_PKdPKPS1_EviT2_lT3_lli ; -- Begin function _ZL22rocblas_sscal_2_kernelILi256E19rocblas_complex_numIdES1_PKdPKPS1_EviT2_lT3_lli
	.p2align	8
	.type	_ZL22rocblas_sscal_2_kernelILi256E19rocblas_complex_numIdES1_PKdPKPS1_EviT2_lT3_lli,@function
_ZL22rocblas_sscal_2_kernelILi256E19rocblas_complex_numIdES1_PKdPKPS1_EviT2_lT3_lli: ; @_ZL22rocblas_sscal_2_kernelILi256E19rocblas_complex_numIdES1_PKdPKPS1_EviT2_lT3_lli
; %bb.0:
	s_load_dwordx4 s[8:11], s[4:5], 0x8
	s_waitcnt lgkmcnt(0)
	s_mul_i32 s0, s11, s7
	s_mul_hi_u32 s1, s10, s7
	s_add_i32 s1, s1, s0
	s_mul_i32 s0, s10, s7
	s_lshl_b64 s[0:1], s[0:1], 3
	s_add_u32 s0, s8, s0
	s_addc_u32 s1, s9, s1
	s_load_dwordx2 s[0:1], s[0:1], 0x0
	s_waitcnt lgkmcnt(0)
	v_cmp_eq_f64_e64 s[8:9], s[0:1], 1.0
	s_and_b64 vcc, exec, s[8:9]
	s_cbranch_vccnz .LBB70_5
; %bb.1:
	s_load_dwordx4 s[8:11], s[4:5], 0x18
	s_mov_b32 s2, s7
	s_mov_b32 s3, 0
	s_lshl_b64 s[2:3], s[2:3], 3
	s_load_dword s4, s[4:5], 0x0
	s_waitcnt lgkmcnt(0)
	s_add_u32 s2, s8, s2
	s_addc_u32 s3, s9, s3
	s_load_dwordx2 s[2:3], s[2:3], 0x0
	v_lshlrev_b32_e32 v0, 1, v0
	v_lshl_or_b32 v0, s6, 9, v0
	s_lshl_b64 s[6:7], s[10:11], 4
	v_or_b32_e32 v1, 1, v0
	s_waitcnt lgkmcnt(0)
	s_add_u32 s5, s2, s6
	s_addc_u32 s6, s3, s7
	v_cmp_gt_u32_e32 vcc, s4, v1
	s_and_saveexec_b64 s[2:3], vcc
	s_cbranch_execz .LBB70_3
; %bb.2:
	v_mov_b32_e32 v1, 0
	v_lshlrev_b64 v[1:2], 4, v[0:1]
	v_mov_b32_e32 v3, s6
	v_add_co_u32_e32 v13, vcc, s5, v1
	v_addc_co_u32_e32 v14, vcc, v3, v2, vcc
	flat_load_dwordx4 v[1:4], v[13:14]
	flat_load_dwordx4 v[5:8], v[13:14] offset:16
	s_waitcnt vmcnt(0) lgkmcnt(0)
	v_mul_f64 v[9:10], v[3:4], 0
	v_mul_f64 v[3:4], s[0:1], v[3:4]
	;; [unrolled: 1-line block ×3, first 2 shown]
	v_fma_f64 v[9:10], s[0:1], v[1:2], -v[9:10]
	v_fma_f64 v[11:12], v[1:2], 0, v[3:4]
	v_mul_f64 v[3:4], s[0:1], v[7:8]
	v_fma_f64 v[1:2], s[0:1], v[5:6], -v[15:16]
	v_fma_f64 v[3:4], v[5:6], 0, v[3:4]
	flat_store_dwordx4 v[13:14], v[9:12]
	flat_store_dwordx4 v[13:14], v[1:4] offset:16
.LBB70_3:
	s_or_b64 exec, exec, s[2:3]
	s_bitcmp1_b32 s4, 0
	s_cselect_b64 s[2:3], -1, 0
	s_add_i32 s4, s4, -1
	v_cmp_eq_u32_e32 vcc, s4, v0
	s_and_b64 s[2:3], s[2:3], vcc
	s_and_saveexec_b64 s[8:9], s[2:3]
	s_cbranch_execz .LBB70_5
; %bb.4:
	v_mov_b32_e32 v1, 0
	v_lshlrev_b64 v[0:1], 4, v[0:1]
	v_mov_b32_e32 v2, s6
	v_add_co_u32_e32 v6, vcc, s5, v0
	v_addc_co_u32_e32 v7, vcc, v2, v1, vcc
	flat_load_dwordx4 v[0:3], v[6:7]
	s_waitcnt vmcnt(0) lgkmcnt(0)
	v_mul_f64 v[4:5], v[2:3], 0
	v_mul_f64 v[8:9], s[0:1], v[2:3]
	v_fma_f64 v[2:3], s[0:1], v[0:1], -v[4:5]
	v_fma_f64 v[4:5], v[0:1], 0, v[8:9]
	flat_store_dwordx4 v[6:7], v[2:5]
.LBB70_5:
	s_endpgm
	.section	.rodata,"a",@progbits
	.p2align	6, 0x0
	.amdhsa_kernel _ZL22rocblas_sscal_2_kernelILi256E19rocblas_complex_numIdES1_PKdPKPS1_EviT2_lT3_lli
		.amdhsa_group_segment_fixed_size 0
		.amdhsa_private_segment_fixed_size 0
		.amdhsa_kernarg_size 52
		.amdhsa_user_sgpr_count 6
		.amdhsa_user_sgpr_private_segment_buffer 1
		.amdhsa_user_sgpr_dispatch_ptr 0
		.amdhsa_user_sgpr_queue_ptr 0
		.amdhsa_user_sgpr_kernarg_segment_ptr 1
		.amdhsa_user_sgpr_dispatch_id 0
		.amdhsa_user_sgpr_flat_scratch_init 0
		.amdhsa_user_sgpr_private_segment_size 0
		.amdhsa_uses_dynamic_stack 0
		.amdhsa_system_sgpr_private_segment_wavefront_offset 0
		.amdhsa_system_sgpr_workgroup_id_x 1
		.amdhsa_system_sgpr_workgroup_id_y 0
		.amdhsa_system_sgpr_workgroup_id_z 1
		.amdhsa_system_sgpr_workgroup_info 0
		.amdhsa_system_vgpr_workitem_id 0
		.amdhsa_next_free_vgpr 17
		.amdhsa_next_free_sgpr 12
		.amdhsa_reserve_vcc 1
		.amdhsa_reserve_flat_scratch 0
		.amdhsa_float_round_mode_32 0
		.amdhsa_float_round_mode_16_64 0
		.amdhsa_float_denorm_mode_32 3
		.amdhsa_float_denorm_mode_16_64 3
		.amdhsa_dx10_clamp 1
		.amdhsa_ieee_mode 1
		.amdhsa_fp16_overflow 0
		.amdhsa_exception_fp_ieee_invalid_op 0
		.amdhsa_exception_fp_denorm_src 0
		.amdhsa_exception_fp_ieee_div_zero 0
		.amdhsa_exception_fp_ieee_overflow 0
		.amdhsa_exception_fp_ieee_underflow 0
		.amdhsa_exception_fp_ieee_inexact 0
		.amdhsa_exception_int_div_zero 0
	.end_amdhsa_kernel
	.section	.text._ZL22rocblas_sscal_2_kernelILi256E19rocblas_complex_numIdES1_PKdPKPS1_EviT2_lT3_lli,"axG",@progbits,_ZL22rocblas_sscal_2_kernelILi256E19rocblas_complex_numIdES1_PKdPKPS1_EviT2_lT3_lli,comdat
.Lfunc_end70:
	.size	_ZL22rocblas_sscal_2_kernelILi256E19rocblas_complex_numIdES1_PKdPKPS1_EviT2_lT3_lli, .Lfunc_end70-_ZL22rocblas_sscal_2_kernelILi256E19rocblas_complex_numIdES1_PKdPKPS1_EviT2_lT3_lli
                                        ; -- End function
	.set _ZL22rocblas_sscal_2_kernelILi256E19rocblas_complex_numIdES1_PKdPKPS1_EviT2_lT3_lli.num_vgpr, 17
	.set _ZL22rocblas_sscal_2_kernelILi256E19rocblas_complex_numIdES1_PKdPKPS1_EviT2_lT3_lli.num_agpr, 0
	.set _ZL22rocblas_sscal_2_kernelILi256E19rocblas_complex_numIdES1_PKdPKPS1_EviT2_lT3_lli.numbered_sgpr, 12
	.set _ZL22rocblas_sscal_2_kernelILi256E19rocblas_complex_numIdES1_PKdPKPS1_EviT2_lT3_lli.num_named_barrier, 0
	.set _ZL22rocblas_sscal_2_kernelILi256E19rocblas_complex_numIdES1_PKdPKPS1_EviT2_lT3_lli.private_seg_size, 0
	.set _ZL22rocblas_sscal_2_kernelILi256E19rocblas_complex_numIdES1_PKdPKPS1_EviT2_lT3_lli.uses_vcc, 1
	.set _ZL22rocblas_sscal_2_kernelILi256E19rocblas_complex_numIdES1_PKdPKPS1_EviT2_lT3_lli.uses_flat_scratch, 0
	.set _ZL22rocblas_sscal_2_kernelILi256E19rocblas_complex_numIdES1_PKdPKPS1_EviT2_lT3_lli.has_dyn_sized_stack, 0
	.set _ZL22rocblas_sscal_2_kernelILi256E19rocblas_complex_numIdES1_PKdPKPS1_EviT2_lT3_lli.has_recursion, 0
	.set _ZL22rocblas_sscal_2_kernelILi256E19rocblas_complex_numIdES1_PKdPKPS1_EviT2_lT3_lli.has_indirect_call, 0
	.section	.AMDGPU.csdata,"",@progbits
; Kernel info:
; codeLenInByte = 396
; TotalNumSgprs: 16
; NumVgprs: 17
; ScratchSize: 0
; MemoryBound: 0
; FloatMode: 240
; IeeeMode: 1
; LDSByteSize: 0 bytes/workgroup (compile time only)
; SGPRBlocks: 1
; VGPRBlocks: 4
; NumSGPRsForWavesPerEU: 16
; NumVGPRsForWavesPerEU: 17
; Occupancy: 10
; WaveLimiterHint : 1
; COMPUTE_PGM_RSRC2:SCRATCH_EN: 0
; COMPUTE_PGM_RSRC2:USER_SGPR: 6
; COMPUTE_PGM_RSRC2:TRAP_HANDLER: 0
; COMPUTE_PGM_RSRC2:TGID_X_EN: 1
; COMPUTE_PGM_RSRC2:TGID_Y_EN: 0
; COMPUTE_PGM_RSRC2:TGID_Z_EN: 1
; COMPUTE_PGM_RSRC2:TIDIG_COMP_CNT: 0
	.section	.text._ZL22rocblas_sscal_2_kernelILi256E19rocblas_complex_numIdES1_dPKPS1_EviT2_lT3_lli,"axG",@progbits,_ZL22rocblas_sscal_2_kernelILi256E19rocblas_complex_numIdES1_dPKPS1_EviT2_lT3_lli,comdat
	.globl	_ZL22rocblas_sscal_2_kernelILi256E19rocblas_complex_numIdES1_dPKPS1_EviT2_lT3_lli ; -- Begin function _ZL22rocblas_sscal_2_kernelILi256E19rocblas_complex_numIdES1_dPKPS1_EviT2_lT3_lli
	.p2align	8
	.type	_ZL22rocblas_sscal_2_kernelILi256E19rocblas_complex_numIdES1_dPKPS1_EviT2_lT3_lli,@function
_ZL22rocblas_sscal_2_kernelILi256E19rocblas_complex_numIdES1_dPKPS1_EviT2_lT3_lli: ; @_ZL22rocblas_sscal_2_kernelILi256E19rocblas_complex_numIdES1_dPKPS1_EviT2_lT3_lli
; %bb.0:
	s_load_dwordx2 s[0:1], s[4:5], 0x8
	s_waitcnt lgkmcnt(0)
	v_cmp_eq_f64_e64 s[8:9], s[0:1], 1.0
	s_and_b64 vcc, exec, s[8:9]
	s_cbranch_vccnz .LBB71_5
; %bb.1:
	s_mov_b32 s2, s7
	s_load_dwordx4 s[8:11], s[4:5], 0x18
	s_load_dword s7, s[4:5], 0x0
	s_mov_b32 s3, 0
	s_lshl_b64 s[2:3], s[2:3], 3
	v_lshlrev_b32_e32 v0, 1, v0
	s_waitcnt lgkmcnt(0)
	s_add_u32 s2, s8, s2
	s_addc_u32 s3, s9, s3
	s_load_dwordx2 s[2:3], s[2:3], 0x0
	v_lshl_or_b32 v0, s6, 9, v0
	s_lshl_b64 s[4:5], s[10:11], 4
	v_or_b32_e32 v1, 1, v0
	v_cmp_gt_u32_e32 vcc, s7, v1
	s_waitcnt lgkmcnt(0)
	s_add_u32 s4, s2, s4
	s_addc_u32 s5, s3, s5
	s_and_saveexec_b64 s[2:3], vcc
	s_cbranch_execz .LBB71_3
; %bb.2:
	v_mov_b32_e32 v1, 0
	v_lshlrev_b64 v[1:2], 4, v[0:1]
	v_mov_b32_e32 v3, s5
	v_add_co_u32_e32 v13, vcc, s4, v1
	v_addc_co_u32_e32 v14, vcc, v3, v2, vcc
	flat_load_dwordx4 v[1:4], v[13:14]
	flat_load_dwordx4 v[5:8], v[13:14] offset:16
	s_waitcnt vmcnt(0) lgkmcnt(0)
	v_mul_f64 v[9:10], v[3:4], 0
	v_mul_f64 v[3:4], s[0:1], v[3:4]
	;; [unrolled: 1-line block ×3, first 2 shown]
	v_fma_f64 v[9:10], s[0:1], v[1:2], -v[9:10]
	v_fma_f64 v[11:12], v[1:2], 0, v[3:4]
	v_mul_f64 v[3:4], s[0:1], v[7:8]
	v_fma_f64 v[1:2], s[0:1], v[5:6], -v[15:16]
	v_fma_f64 v[3:4], v[5:6], 0, v[3:4]
	flat_store_dwordx4 v[13:14], v[9:12]
	flat_store_dwordx4 v[13:14], v[1:4] offset:16
.LBB71_3:
	s_or_b64 exec, exec, s[2:3]
	s_bitcmp1_b32 s7, 0
	s_cselect_b64 s[2:3], -1, 0
	s_add_i32 s7, s7, -1
	v_cmp_eq_u32_e32 vcc, s7, v0
	s_and_b64 s[2:3], s[2:3], vcc
	s_and_saveexec_b64 s[6:7], s[2:3]
	s_cbranch_execz .LBB71_5
; %bb.4:
	v_mov_b32_e32 v1, 0
	v_lshlrev_b64 v[0:1], 4, v[0:1]
	v_mov_b32_e32 v2, s5
	v_add_co_u32_e32 v6, vcc, s4, v0
	v_addc_co_u32_e32 v7, vcc, v2, v1, vcc
	flat_load_dwordx4 v[0:3], v[6:7]
	s_waitcnt vmcnt(0) lgkmcnt(0)
	v_mul_f64 v[4:5], v[2:3], 0
	v_mul_f64 v[8:9], s[0:1], v[2:3]
	v_fma_f64 v[2:3], s[0:1], v[0:1], -v[4:5]
	v_fma_f64 v[4:5], v[0:1], 0, v[8:9]
	flat_store_dwordx4 v[6:7], v[2:5]
.LBB71_5:
	s_endpgm
	.section	.rodata,"a",@progbits
	.p2align	6, 0x0
	.amdhsa_kernel _ZL22rocblas_sscal_2_kernelILi256E19rocblas_complex_numIdES1_dPKPS1_EviT2_lT3_lli
		.amdhsa_group_segment_fixed_size 0
		.amdhsa_private_segment_fixed_size 0
		.amdhsa_kernarg_size 52
		.amdhsa_user_sgpr_count 6
		.amdhsa_user_sgpr_private_segment_buffer 1
		.amdhsa_user_sgpr_dispatch_ptr 0
		.amdhsa_user_sgpr_queue_ptr 0
		.amdhsa_user_sgpr_kernarg_segment_ptr 1
		.amdhsa_user_sgpr_dispatch_id 0
		.amdhsa_user_sgpr_flat_scratch_init 0
		.amdhsa_user_sgpr_private_segment_size 0
		.amdhsa_uses_dynamic_stack 0
		.amdhsa_system_sgpr_private_segment_wavefront_offset 0
		.amdhsa_system_sgpr_workgroup_id_x 1
		.amdhsa_system_sgpr_workgroup_id_y 0
		.amdhsa_system_sgpr_workgroup_id_z 1
		.amdhsa_system_sgpr_workgroup_info 0
		.amdhsa_system_vgpr_workitem_id 0
		.amdhsa_next_free_vgpr 17
		.amdhsa_next_free_sgpr 12
		.amdhsa_reserve_vcc 1
		.amdhsa_reserve_flat_scratch 0
		.amdhsa_float_round_mode_32 0
		.amdhsa_float_round_mode_16_64 0
		.amdhsa_float_denorm_mode_32 3
		.amdhsa_float_denorm_mode_16_64 3
		.amdhsa_dx10_clamp 1
		.amdhsa_ieee_mode 1
		.amdhsa_fp16_overflow 0
		.amdhsa_exception_fp_ieee_invalid_op 0
		.amdhsa_exception_fp_denorm_src 0
		.amdhsa_exception_fp_ieee_div_zero 0
		.amdhsa_exception_fp_ieee_overflow 0
		.amdhsa_exception_fp_ieee_underflow 0
		.amdhsa_exception_fp_ieee_inexact 0
		.amdhsa_exception_int_div_zero 0
	.end_amdhsa_kernel
	.section	.text._ZL22rocblas_sscal_2_kernelILi256E19rocblas_complex_numIdES1_dPKPS1_EviT2_lT3_lli,"axG",@progbits,_ZL22rocblas_sscal_2_kernelILi256E19rocblas_complex_numIdES1_dPKPS1_EviT2_lT3_lli,comdat
.Lfunc_end71:
	.size	_ZL22rocblas_sscal_2_kernelILi256E19rocblas_complex_numIdES1_dPKPS1_EviT2_lT3_lli, .Lfunc_end71-_ZL22rocblas_sscal_2_kernelILi256E19rocblas_complex_numIdES1_dPKPS1_EviT2_lT3_lli
                                        ; -- End function
	.set _ZL22rocblas_sscal_2_kernelILi256E19rocblas_complex_numIdES1_dPKPS1_EviT2_lT3_lli.num_vgpr, 17
	.set _ZL22rocblas_sscal_2_kernelILi256E19rocblas_complex_numIdES1_dPKPS1_EviT2_lT3_lli.num_agpr, 0
	.set _ZL22rocblas_sscal_2_kernelILi256E19rocblas_complex_numIdES1_dPKPS1_EviT2_lT3_lli.numbered_sgpr, 12
	.set _ZL22rocblas_sscal_2_kernelILi256E19rocblas_complex_numIdES1_dPKPS1_EviT2_lT3_lli.num_named_barrier, 0
	.set _ZL22rocblas_sscal_2_kernelILi256E19rocblas_complex_numIdES1_dPKPS1_EviT2_lT3_lli.private_seg_size, 0
	.set _ZL22rocblas_sscal_2_kernelILi256E19rocblas_complex_numIdES1_dPKPS1_EviT2_lT3_lli.uses_vcc, 1
	.set _ZL22rocblas_sscal_2_kernelILi256E19rocblas_complex_numIdES1_dPKPS1_EviT2_lT3_lli.uses_flat_scratch, 0
	.set _ZL22rocblas_sscal_2_kernelILi256E19rocblas_complex_numIdES1_dPKPS1_EviT2_lT3_lli.has_dyn_sized_stack, 0
	.set _ZL22rocblas_sscal_2_kernelILi256E19rocblas_complex_numIdES1_dPKPS1_EviT2_lT3_lli.has_recursion, 0
	.set _ZL22rocblas_sscal_2_kernelILi256E19rocblas_complex_numIdES1_dPKPS1_EviT2_lT3_lli.has_indirect_call, 0
	.section	.AMDGPU.csdata,"",@progbits
; Kernel info:
; codeLenInByte = 356
; TotalNumSgprs: 16
; NumVgprs: 17
; ScratchSize: 0
; MemoryBound: 0
; FloatMode: 240
; IeeeMode: 1
; LDSByteSize: 0 bytes/workgroup (compile time only)
; SGPRBlocks: 1
; VGPRBlocks: 4
; NumSGPRsForWavesPerEU: 16
; NumVGPRsForWavesPerEU: 17
; Occupancy: 10
; WaveLimiterHint : 1
; COMPUTE_PGM_RSRC2:SCRATCH_EN: 0
; COMPUTE_PGM_RSRC2:USER_SGPR: 6
; COMPUTE_PGM_RSRC2:TRAP_HANDLER: 0
; COMPUTE_PGM_RSRC2:TGID_X_EN: 1
; COMPUTE_PGM_RSRC2:TGID_Y_EN: 0
; COMPUTE_PGM_RSRC2:TGID_Z_EN: 1
; COMPUTE_PGM_RSRC2:TIDIG_COMP_CNT: 0
	.section	.text._ZL19rocblas_scal_kernelIiLi256E19rocblas_complex_numIdES1_PKdPKPS1_EviT3_lT4_lT_li,"axG",@progbits,_ZL19rocblas_scal_kernelIiLi256E19rocblas_complex_numIdES1_PKdPKPS1_EviT3_lT4_lT_li,comdat
	.globl	_ZL19rocblas_scal_kernelIiLi256E19rocblas_complex_numIdES1_PKdPKPS1_EviT3_lT4_lT_li ; -- Begin function _ZL19rocblas_scal_kernelIiLi256E19rocblas_complex_numIdES1_PKdPKPS1_EviT3_lT4_lT_li
	.p2align	8
	.type	_ZL19rocblas_scal_kernelIiLi256E19rocblas_complex_numIdES1_PKdPKPS1_EviT3_lT4_lT_li,@function
_ZL19rocblas_scal_kernelIiLi256E19rocblas_complex_numIdES1_PKdPKPS1_EviT3_lT4_lT_li: ; @_ZL19rocblas_scal_kernelIiLi256E19rocblas_complex_numIdES1_PKdPKPS1_EviT3_lT4_lT_li
; %bb.0:
	s_load_dwordx8 s[8:15], s[4:5], 0x8
	s_load_dword s3, s[4:5], 0x0
	v_lshl_or_b32 v0, s6, 8, v0
	s_mov_b32 s2, s7
	s_waitcnt lgkmcnt(0)
	s_mul_i32 s0, s11, s7
	s_mul_hi_u32 s1, s10, s7
	s_add_i32 s1, s1, s0
	s_mul_i32 s0, s10, s7
	s_lshl_b64 s[0:1], s[0:1], 3
	s_add_u32 s0, s8, s0
	s_addc_u32 s1, s9, s1
	s_load_dwordx2 s[0:1], s[0:1], 0x0
	v_cmp_gt_u32_e32 vcc, s3, v0
	s_waitcnt lgkmcnt(0)
	v_cmp_neq_f64_e64 s[8:9], s[0:1], 1.0
	s_and_b64 s[6:7], vcc, s[8:9]
	s_and_saveexec_b64 s[8:9], s[6:7]
	s_cbranch_execz .LBB72_2
; %bb.1:
	s_load_dword s4, s[4:5], 0x28
	s_mov_b32 s3, 0
	s_lshl_b64 s[2:3], s[2:3], 3
	s_waitcnt lgkmcnt(0)
	s_ashr_i32 s6, s4, 31
	v_mad_u64_u32 v[1:2], s[4:5], s4, v0, 0
	s_add_u32 s2, s12, s2
	s_addc_u32 s3, s13, s3
	s_load_dwordx2 s[2:3], s[2:3], 0x0
	v_mad_u64_u32 v[2:3], s[4:5], s6, v0, v[2:3]
	s_lshl_b64 s[4:5], s[14:15], 4
	s_waitcnt lgkmcnt(0)
	s_add_u32 s2, s2, s4
	v_lshlrev_b64 v[0:1], 4, v[1:2]
	s_addc_u32 s3, s3, s5
	v_mov_b32_e32 v2, s3
	v_add_co_u32_e32 v6, vcc, s2, v0
	v_addc_co_u32_e32 v7, vcc, v2, v1, vcc
	flat_load_dwordx4 v[0:3], v[6:7]
	s_waitcnt vmcnt(0) lgkmcnt(0)
	v_mul_f64 v[4:5], v[2:3], 0
	v_mul_f64 v[8:9], s[0:1], v[2:3]
	v_fma_f64 v[2:3], s[0:1], v[0:1], -v[4:5]
	v_fma_f64 v[4:5], v[0:1], 0, v[8:9]
	flat_store_dwordx4 v[6:7], v[2:5]
.LBB72_2:
	s_endpgm
	.section	.rodata,"a",@progbits
	.p2align	6, 0x0
	.amdhsa_kernel _ZL19rocblas_scal_kernelIiLi256E19rocblas_complex_numIdES1_PKdPKPS1_EviT3_lT4_lT_li
		.amdhsa_group_segment_fixed_size 0
		.amdhsa_private_segment_fixed_size 0
		.amdhsa_kernarg_size 60
		.amdhsa_user_sgpr_count 6
		.amdhsa_user_sgpr_private_segment_buffer 1
		.amdhsa_user_sgpr_dispatch_ptr 0
		.amdhsa_user_sgpr_queue_ptr 0
		.amdhsa_user_sgpr_kernarg_segment_ptr 1
		.amdhsa_user_sgpr_dispatch_id 0
		.amdhsa_user_sgpr_flat_scratch_init 0
		.amdhsa_user_sgpr_private_segment_size 0
		.amdhsa_uses_dynamic_stack 0
		.amdhsa_system_sgpr_private_segment_wavefront_offset 0
		.amdhsa_system_sgpr_workgroup_id_x 1
		.amdhsa_system_sgpr_workgroup_id_y 0
		.amdhsa_system_sgpr_workgroup_id_z 1
		.amdhsa_system_sgpr_workgroup_info 0
		.amdhsa_system_vgpr_workitem_id 0
		.amdhsa_next_free_vgpr 10
		.amdhsa_next_free_sgpr 16
		.amdhsa_reserve_vcc 1
		.amdhsa_reserve_flat_scratch 0
		.amdhsa_float_round_mode_32 0
		.amdhsa_float_round_mode_16_64 0
		.amdhsa_float_denorm_mode_32 3
		.amdhsa_float_denorm_mode_16_64 3
		.amdhsa_dx10_clamp 1
		.amdhsa_ieee_mode 1
		.amdhsa_fp16_overflow 0
		.amdhsa_exception_fp_ieee_invalid_op 0
		.amdhsa_exception_fp_denorm_src 0
		.amdhsa_exception_fp_ieee_div_zero 0
		.amdhsa_exception_fp_ieee_overflow 0
		.amdhsa_exception_fp_ieee_underflow 0
		.amdhsa_exception_fp_ieee_inexact 0
		.amdhsa_exception_int_div_zero 0
	.end_amdhsa_kernel
	.section	.text._ZL19rocblas_scal_kernelIiLi256E19rocblas_complex_numIdES1_PKdPKPS1_EviT3_lT4_lT_li,"axG",@progbits,_ZL19rocblas_scal_kernelIiLi256E19rocblas_complex_numIdES1_PKdPKPS1_EviT3_lT4_lT_li,comdat
.Lfunc_end72:
	.size	_ZL19rocblas_scal_kernelIiLi256E19rocblas_complex_numIdES1_PKdPKPS1_EviT3_lT4_lT_li, .Lfunc_end72-_ZL19rocblas_scal_kernelIiLi256E19rocblas_complex_numIdES1_PKdPKPS1_EviT3_lT4_lT_li
                                        ; -- End function
	.set _ZL19rocblas_scal_kernelIiLi256E19rocblas_complex_numIdES1_PKdPKPS1_EviT3_lT4_lT_li.num_vgpr, 10
	.set _ZL19rocblas_scal_kernelIiLi256E19rocblas_complex_numIdES1_PKdPKPS1_EviT3_lT4_lT_li.num_agpr, 0
	.set _ZL19rocblas_scal_kernelIiLi256E19rocblas_complex_numIdES1_PKdPKPS1_EviT3_lT4_lT_li.numbered_sgpr, 16
	.set _ZL19rocblas_scal_kernelIiLi256E19rocblas_complex_numIdES1_PKdPKPS1_EviT3_lT4_lT_li.num_named_barrier, 0
	.set _ZL19rocblas_scal_kernelIiLi256E19rocblas_complex_numIdES1_PKdPKPS1_EviT3_lT4_lT_li.private_seg_size, 0
	.set _ZL19rocblas_scal_kernelIiLi256E19rocblas_complex_numIdES1_PKdPKPS1_EviT3_lT4_lT_li.uses_vcc, 1
	.set _ZL19rocblas_scal_kernelIiLi256E19rocblas_complex_numIdES1_PKdPKPS1_EviT3_lT4_lT_li.uses_flat_scratch, 0
	.set _ZL19rocblas_scal_kernelIiLi256E19rocblas_complex_numIdES1_PKdPKPS1_EviT3_lT4_lT_li.has_dyn_sized_stack, 0
	.set _ZL19rocblas_scal_kernelIiLi256E19rocblas_complex_numIdES1_PKdPKPS1_EviT3_lT4_lT_li.has_recursion, 0
	.set _ZL19rocblas_scal_kernelIiLi256E19rocblas_complex_numIdES1_PKdPKPS1_EviT3_lT4_lT_li.has_indirect_call, 0
	.section	.AMDGPU.csdata,"",@progbits
; Kernel info:
; codeLenInByte = 244
; TotalNumSgprs: 20
; NumVgprs: 10
; ScratchSize: 0
; MemoryBound: 0
; FloatMode: 240
; IeeeMode: 1
; LDSByteSize: 0 bytes/workgroup (compile time only)
; SGPRBlocks: 2
; VGPRBlocks: 2
; NumSGPRsForWavesPerEU: 20
; NumVGPRsForWavesPerEU: 10
; Occupancy: 10
; WaveLimiterHint : 1
; COMPUTE_PGM_RSRC2:SCRATCH_EN: 0
; COMPUTE_PGM_RSRC2:USER_SGPR: 6
; COMPUTE_PGM_RSRC2:TRAP_HANDLER: 0
; COMPUTE_PGM_RSRC2:TGID_X_EN: 1
; COMPUTE_PGM_RSRC2:TGID_Y_EN: 0
; COMPUTE_PGM_RSRC2:TGID_Z_EN: 1
; COMPUTE_PGM_RSRC2:TIDIG_COMP_CNT: 0
	.section	.text._ZL19rocblas_scal_kernelIiLi256E19rocblas_complex_numIdES1_dPKPS1_EviT3_lT4_lT_li,"axG",@progbits,_ZL19rocblas_scal_kernelIiLi256E19rocblas_complex_numIdES1_dPKPS1_EviT3_lT4_lT_li,comdat
	.globl	_ZL19rocblas_scal_kernelIiLi256E19rocblas_complex_numIdES1_dPKPS1_EviT3_lT4_lT_li ; -- Begin function _ZL19rocblas_scal_kernelIiLi256E19rocblas_complex_numIdES1_dPKPS1_EviT3_lT4_lT_li
	.p2align	8
	.type	_ZL19rocblas_scal_kernelIiLi256E19rocblas_complex_numIdES1_dPKPS1_EviT3_lT4_lT_li,@function
_ZL19rocblas_scal_kernelIiLi256E19rocblas_complex_numIdES1_dPKPS1_EviT3_lT4_lT_li: ; @_ZL19rocblas_scal_kernelIiLi256E19rocblas_complex_numIdES1_dPKPS1_EviT3_lT4_lT_li
; %bb.0:
	s_load_dwordx2 s[0:1], s[4:5], 0x8
	s_load_dword s3, s[4:5], 0x0
	v_lshl_or_b32 v0, s6, 8, v0
	s_mov_b32 s2, s7
	s_waitcnt lgkmcnt(0)
	v_cmp_neq_f64_e64 s[8:9], s[0:1], 1.0
	v_cmp_gt_u32_e32 vcc, s3, v0
	s_and_b64 s[6:7], vcc, s[8:9]
	s_and_saveexec_b64 s[8:9], s[6:7]
	s_cbranch_execz .LBB73_2
; %bb.1:
	s_load_dword s6, s[4:5], 0x28
	s_load_dwordx4 s[8:11], s[4:5], 0x18
	s_mov_b32 s3, 0
	s_lshl_b64 s[2:3], s[2:3], 3
	s_waitcnt lgkmcnt(0)
	s_ashr_i32 s7, s6, 31
	v_mad_u64_u32 v[1:2], s[4:5], s6, v0, 0
	s_add_u32 s2, s8, s2
	s_addc_u32 s3, s9, s3
	s_load_dwordx2 s[2:3], s[2:3], 0x0
	v_mad_u64_u32 v[2:3], s[4:5], s7, v0, v[2:3]
	s_lshl_b64 s[4:5], s[10:11], 4
	s_waitcnt lgkmcnt(0)
	s_add_u32 s2, s2, s4
	v_lshlrev_b64 v[0:1], 4, v[1:2]
	s_addc_u32 s3, s3, s5
	v_mov_b32_e32 v2, s3
	v_add_co_u32_e32 v6, vcc, s2, v0
	v_addc_co_u32_e32 v7, vcc, v2, v1, vcc
	flat_load_dwordx4 v[0:3], v[6:7]
	s_waitcnt vmcnt(0) lgkmcnt(0)
	v_mul_f64 v[4:5], v[2:3], 0
	v_mul_f64 v[8:9], s[0:1], v[2:3]
	v_fma_f64 v[2:3], s[0:1], v[0:1], -v[4:5]
	v_fma_f64 v[4:5], v[0:1], 0, v[8:9]
	flat_store_dwordx4 v[6:7], v[2:5]
.LBB73_2:
	s_endpgm
	.section	.rodata,"a",@progbits
	.p2align	6, 0x0
	.amdhsa_kernel _ZL19rocblas_scal_kernelIiLi256E19rocblas_complex_numIdES1_dPKPS1_EviT3_lT4_lT_li
		.amdhsa_group_segment_fixed_size 0
		.amdhsa_private_segment_fixed_size 0
		.amdhsa_kernarg_size 60
		.amdhsa_user_sgpr_count 6
		.amdhsa_user_sgpr_private_segment_buffer 1
		.amdhsa_user_sgpr_dispatch_ptr 0
		.amdhsa_user_sgpr_queue_ptr 0
		.amdhsa_user_sgpr_kernarg_segment_ptr 1
		.amdhsa_user_sgpr_dispatch_id 0
		.amdhsa_user_sgpr_flat_scratch_init 0
		.amdhsa_user_sgpr_private_segment_size 0
		.amdhsa_uses_dynamic_stack 0
		.amdhsa_system_sgpr_private_segment_wavefront_offset 0
		.amdhsa_system_sgpr_workgroup_id_x 1
		.amdhsa_system_sgpr_workgroup_id_y 0
		.amdhsa_system_sgpr_workgroup_id_z 1
		.amdhsa_system_sgpr_workgroup_info 0
		.amdhsa_system_vgpr_workitem_id 0
		.amdhsa_next_free_vgpr 10
		.amdhsa_next_free_sgpr 12
		.amdhsa_reserve_vcc 1
		.amdhsa_reserve_flat_scratch 0
		.amdhsa_float_round_mode_32 0
		.amdhsa_float_round_mode_16_64 0
		.amdhsa_float_denorm_mode_32 3
		.amdhsa_float_denorm_mode_16_64 3
		.amdhsa_dx10_clamp 1
		.amdhsa_ieee_mode 1
		.amdhsa_fp16_overflow 0
		.amdhsa_exception_fp_ieee_invalid_op 0
		.amdhsa_exception_fp_denorm_src 0
		.amdhsa_exception_fp_ieee_div_zero 0
		.amdhsa_exception_fp_ieee_overflow 0
		.amdhsa_exception_fp_ieee_underflow 0
		.amdhsa_exception_fp_ieee_inexact 0
		.amdhsa_exception_int_div_zero 0
	.end_amdhsa_kernel
	.section	.text._ZL19rocblas_scal_kernelIiLi256E19rocblas_complex_numIdES1_dPKPS1_EviT3_lT4_lT_li,"axG",@progbits,_ZL19rocblas_scal_kernelIiLi256E19rocblas_complex_numIdES1_dPKPS1_EviT3_lT4_lT_li,comdat
.Lfunc_end73:
	.size	_ZL19rocblas_scal_kernelIiLi256E19rocblas_complex_numIdES1_dPKPS1_EviT3_lT4_lT_li, .Lfunc_end73-_ZL19rocblas_scal_kernelIiLi256E19rocblas_complex_numIdES1_dPKPS1_EviT3_lT4_lT_li
                                        ; -- End function
	.set _ZL19rocblas_scal_kernelIiLi256E19rocblas_complex_numIdES1_dPKPS1_EviT3_lT4_lT_li.num_vgpr, 10
	.set _ZL19rocblas_scal_kernelIiLi256E19rocblas_complex_numIdES1_dPKPS1_EviT3_lT4_lT_li.num_agpr, 0
	.set _ZL19rocblas_scal_kernelIiLi256E19rocblas_complex_numIdES1_dPKPS1_EviT3_lT4_lT_li.numbered_sgpr, 12
	.set _ZL19rocblas_scal_kernelIiLi256E19rocblas_complex_numIdES1_dPKPS1_EviT3_lT4_lT_li.num_named_barrier, 0
	.set _ZL19rocblas_scal_kernelIiLi256E19rocblas_complex_numIdES1_dPKPS1_EviT3_lT4_lT_li.private_seg_size, 0
	.set _ZL19rocblas_scal_kernelIiLi256E19rocblas_complex_numIdES1_dPKPS1_EviT3_lT4_lT_li.uses_vcc, 1
	.set _ZL19rocblas_scal_kernelIiLi256E19rocblas_complex_numIdES1_dPKPS1_EviT3_lT4_lT_li.uses_flat_scratch, 0
	.set _ZL19rocblas_scal_kernelIiLi256E19rocblas_complex_numIdES1_dPKPS1_EviT3_lT4_lT_li.has_dyn_sized_stack, 0
	.set _ZL19rocblas_scal_kernelIiLi256E19rocblas_complex_numIdES1_dPKPS1_EviT3_lT4_lT_li.has_recursion, 0
	.set _ZL19rocblas_scal_kernelIiLi256E19rocblas_complex_numIdES1_dPKPS1_EviT3_lT4_lT_li.has_indirect_call, 0
	.section	.AMDGPU.csdata,"",@progbits
; Kernel info:
; codeLenInByte = 212
; TotalNumSgprs: 16
; NumVgprs: 10
; ScratchSize: 0
; MemoryBound: 0
; FloatMode: 240
; IeeeMode: 1
; LDSByteSize: 0 bytes/workgroup (compile time only)
; SGPRBlocks: 1
; VGPRBlocks: 2
; NumSGPRsForWavesPerEU: 16
; NumVGPRsForWavesPerEU: 10
; Occupancy: 10
; WaveLimiterHint : 1
; COMPUTE_PGM_RSRC2:SCRATCH_EN: 0
; COMPUTE_PGM_RSRC2:USER_SGPR: 6
; COMPUTE_PGM_RSRC2:TRAP_HANDLER: 0
; COMPUTE_PGM_RSRC2:TGID_X_EN: 1
; COMPUTE_PGM_RSRC2:TGID_Y_EN: 0
; COMPUTE_PGM_RSRC2:TGID_Z_EN: 1
; COMPUTE_PGM_RSRC2:TIDIG_COMP_CNT: 0
	.section	.text._ZL19rocblas_scal_kernelIlLi256E19rocblas_complex_numIdES1_PKdPKPS1_EviT3_lT4_lT_li,"axG",@progbits,_ZL19rocblas_scal_kernelIlLi256E19rocblas_complex_numIdES1_PKdPKPS1_EviT3_lT4_lT_li,comdat
	.globl	_ZL19rocblas_scal_kernelIlLi256E19rocblas_complex_numIdES1_PKdPKPS1_EviT3_lT4_lT_li ; -- Begin function _ZL19rocblas_scal_kernelIlLi256E19rocblas_complex_numIdES1_PKdPKPS1_EviT3_lT4_lT_li
	.p2align	8
	.type	_ZL19rocblas_scal_kernelIlLi256E19rocblas_complex_numIdES1_PKdPKPS1_EviT3_lT4_lT_li,@function
_ZL19rocblas_scal_kernelIlLi256E19rocblas_complex_numIdES1_PKdPKPS1_EviT3_lT4_lT_li: ; @_ZL19rocblas_scal_kernelIlLi256E19rocblas_complex_numIdES1_PKdPKPS1_EviT3_lT4_lT_li
; %bb.0:
	s_load_dwordx8 s[8:15], s[4:5], 0x8
	s_load_dword s3, s[4:5], 0x0
	v_lshl_or_b32 v0, s6, 8, v0
	s_mov_b32 s2, s7
	s_waitcnt lgkmcnt(0)
	s_mul_i32 s0, s11, s7
	s_mul_hi_u32 s1, s10, s7
	s_add_i32 s1, s1, s0
	s_mul_i32 s0, s10, s7
	s_lshl_b64 s[0:1], s[0:1], 3
	s_add_u32 s0, s8, s0
	s_addc_u32 s1, s9, s1
	s_load_dwordx2 s[0:1], s[0:1], 0x0
	v_cmp_gt_u32_e32 vcc, s3, v0
	s_waitcnt lgkmcnt(0)
	v_cmp_neq_f64_e64 s[8:9], s[0:1], 1.0
	s_and_b64 s[6:7], vcc, s[8:9]
	s_and_saveexec_b64 s[8:9], s[6:7]
	s_cbranch_execz .LBB74_2
; %bb.1:
	s_load_dwordx2 s[4:5], s[4:5], 0x28
	s_mov_b32 s3, 0
	s_lshl_b64 s[2:3], s[2:3], 3
	s_add_u32 s2, s12, s2
	s_addc_u32 s3, s13, s3
	s_waitcnt lgkmcnt(0)
	v_mad_u64_u32 v[1:2], s[6:7], s4, v0, 0
	s_load_dwordx2 s[2:3], s[2:3], 0x0
	v_mad_u64_u32 v[2:3], s[4:5], s5, v0, v[2:3]
	s_lshl_b64 s[4:5], s[14:15], 4
	s_waitcnt lgkmcnt(0)
	s_add_u32 s2, s2, s4
	v_lshlrev_b64 v[0:1], 4, v[1:2]
	s_addc_u32 s3, s3, s5
	v_mov_b32_e32 v2, s3
	v_add_co_u32_e32 v6, vcc, s2, v0
	v_addc_co_u32_e32 v7, vcc, v2, v1, vcc
	flat_load_dwordx4 v[0:3], v[6:7]
	s_waitcnt vmcnt(0) lgkmcnt(0)
	v_mul_f64 v[4:5], v[2:3], 0
	v_mul_f64 v[8:9], s[0:1], v[2:3]
	v_fma_f64 v[2:3], s[0:1], v[0:1], -v[4:5]
	v_fma_f64 v[4:5], v[0:1], 0, v[8:9]
	flat_store_dwordx4 v[6:7], v[2:5]
.LBB74_2:
	s_endpgm
	.section	.rodata,"a",@progbits
	.p2align	6, 0x0
	.amdhsa_kernel _ZL19rocblas_scal_kernelIlLi256E19rocblas_complex_numIdES1_PKdPKPS1_EviT3_lT4_lT_li
		.amdhsa_group_segment_fixed_size 0
		.amdhsa_private_segment_fixed_size 0
		.amdhsa_kernarg_size 60
		.amdhsa_user_sgpr_count 6
		.amdhsa_user_sgpr_private_segment_buffer 1
		.amdhsa_user_sgpr_dispatch_ptr 0
		.amdhsa_user_sgpr_queue_ptr 0
		.amdhsa_user_sgpr_kernarg_segment_ptr 1
		.amdhsa_user_sgpr_dispatch_id 0
		.amdhsa_user_sgpr_flat_scratch_init 0
		.amdhsa_user_sgpr_private_segment_size 0
		.amdhsa_uses_dynamic_stack 0
		.amdhsa_system_sgpr_private_segment_wavefront_offset 0
		.amdhsa_system_sgpr_workgroup_id_x 1
		.amdhsa_system_sgpr_workgroup_id_y 0
		.amdhsa_system_sgpr_workgroup_id_z 1
		.amdhsa_system_sgpr_workgroup_info 0
		.amdhsa_system_vgpr_workitem_id 0
		.amdhsa_next_free_vgpr 10
		.amdhsa_next_free_sgpr 16
		.amdhsa_reserve_vcc 1
		.amdhsa_reserve_flat_scratch 0
		.amdhsa_float_round_mode_32 0
		.amdhsa_float_round_mode_16_64 0
		.amdhsa_float_denorm_mode_32 3
		.amdhsa_float_denorm_mode_16_64 3
		.amdhsa_dx10_clamp 1
		.amdhsa_ieee_mode 1
		.amdhsa_fp16_overflow 0
		.amdhsa_exception_fp_ieee_invalid_op 0
		.amdhsa_exception_fp_denorm_src 0
		.amdhsa_exception_fp_ieee_div_zero 0
		.amdhsa_exception_fp_ieee_overflow 0
		.amdhsa_exception_fp_ieee_underflow 0
		.amdhsa_exception_fp_ieee_inexact 0
		.amdhsa_exception_int_div_zero 0
	.end_amdhsa_kernel
	.section	.text._ZL19rocblas_scal_kernelIlLi256E19rocblas_complex_numIdES1_PKdPKPS1_EviT3_lT4_lT_li,"axG",@progbits,_ZL19rocblas_scal_kernelIlLi256E19rocblas_complex_numIdES1_PKdPKPS1_EviT3_lT4_lT_li,comdat
.Lfunc_end74:
	.size	_ZL19rocblas_scal_kernelIlLi256E19rocblas_complex_numIdES1_PKdPKPS1_EviT3_lT4_lT_li, .Lfunc_end74-_ZL19rocblas_scal_kernelIlLi256E19rocblas_complex_numIdES1_PKdPKPS1_EviT3_lT4_lT_li
                                        ; -- End function
	.set _ZL19rocblas_scal_kernelIlLi256E19rocblas_complex_numIdES1_PKdPKPS1_EviT3_lT4_lT_li.num_vgpr, 10
	.set _ZL19rocblas_scal_kernelIlLi256E19rocblas_complex_numIdES1_PKdPKPS1_EviT3_lT4_lT_li.num_agpr, 0
	.set _ZL19rocblas_scal_kernelIlLi256E19rocblas_complex_numIdES1_PKdPKPS1_EviT3_lT4_lT_li.numbered_sgpr, 16
	.set _ZL19rocblas_scal_kernelIlLi256E19rocblas_complex_numIdES1_PKdPKPS1_EviT3_lT4_lT_li.num_named_barrier, 0
	.set _ZL19rocblas_scal_kernelIlLi256E19rocblas_complex_numIdES1_PKdPKPS1_EviT3_lT4_lT_li.private_seg_size, 0
	.set _ZL19rocblas_scal_kernelIlLi256E19rocblas_complex_numIdES1_PKdPKPS1_EviT3_lT4_lT_li.uses_vcc, 1
	.set _ZL19rocblas_scal_kernelIlLi256E19rocblas_complex_numIdES1_PKdPKPS1_EviT3_lT4_lT_li.uses_flat_scratch, 0
	.set _ZL19rocblas_scal_kernelIlLi256E19rocblas_complex_numIdES1_PKdPKPS1_EviT3_lT4_lT_li.has_dyn_sized_stack, 0
	.set _ZL19rocblas_scal_kernelIlLi256E19rocblas_complex_numIdES1_PKdPKPS1_EviT3_lT4_lT_li.has_recursion, 0
	.set _ZL19rocblas_scal_kernelIlLi256E19rocblas_complex_numIdES1_PKdPKPS1_EviT3_lT4_lT_li.has_indirect_call, 0
	.section	.AMDGPU.csdata,"",@progbits
; Kernel info:
; codeLenInByte = 240
; TotalNumSgprs: 20
; NumVgprs: 10
; ScratchSize: 0
; MemoryBound: 0
; FloatMode: 240
; IeeeMode: 1
; LDSByteSize: 0 bytes/workgroup (compile time only)
; SGPRBlocks: 2
; VGPRBlocks: 2
; NumSGPRsForWavesPerEU: 20
; NumVGPRsForWavesPerEU: 10
; Occupancy: 10
; WaveLimiterHint : 1
; COMPUTE_PGM_RSRC2:SCRATCH_EN: 0
; COMPUTE_PGM_RSRC2:USER_SGPR: 6
; COMPUTE_PGM_RSRC2:TRAP_HANDLER: 0
; COMPUTE_PGM_RSRC2:TGID_X_EN: 1
; COMPUTE_PGM_RSRC2:TGID_Y_EN: 0
; COMPUTE_PGM_RSRC2:TGID_Z_EN: 1
; COMPUTE_PGM_RSRC2:TIDIG_COMP_CNT: 0
	.section	.text._ZL19rocblas_scal_kernelIlLi256E19rocblas_complex_numIdES1_dPKPS1_EviT3_lT4_lT_li,"axG",@progbits,_ZL19rocblas_scal_kernelIlLi256E19rocblas_complex_numIdES1_dPKPS1_EviT3_lT4_lT_li,comdat
	.globl	_ZL19rocblas_scal_kernelIlLi256E19rocblas_complex_numIdES1_dPKPS1_EviT3_lT4_lT_li ; -- Begin function _ZL19rocblas_scal_kernelIlLi256E19rocblas_complex_numIdES1_dPKPS1_EviT3_lT4_lT_li
	.p2align	8
	.type	_ZL19rocblas_scal_kernelIlLi256E19rocblas_complex_numIdES1_dPKPS1_EviT3_lT4_lT_li,@function
_ZL19rocblas_scal_kernelIlLi256E19rocblas_complex_numIdES1_dPKPS1_EviT3_lT4_lT_li: ; @_ZL19rocblas_scal_kernelIlLi256E19rocblas_complex_numIdES1_dPKPS1_EviT3_lT4_lT_li
; %bb.0:
	s_load_dwordx2 s[0:1], s[4:5], 0x8
	s_load_dword s3, s[4:5], 0x0
	v_lshl_or_b32 v0, s6, 8, v0
	s_mov_b32 s2, s7
	s_waitcnt lgkmcnt(0)
	v_cmp_neq_f64_e64 s[8:9], s[0:1], 1.0
	v_cmp_gt_u32_e32 vcc, s3, v0
	s_and_b64 s[6:7], vcc, s[8:9]
	s_and_saveexec_b64 s[8:9], s[6:7]
	s_cbranch_execz .LBB75_2
; %bb.1:
	s_load_dwordx2 s[6:7], s[4:5], 0x28
	s_load_dwordx4 s[8:11], s[4:5], 0x18
	s_mov_b32 s3, 0
	s_lshl_b64 s[2:3], s[2:3], 3
	s_waitcnt lgkmcnt(0)
	v_mad_u64_u32 v[1:2], s[4:5], s6, v0, 0
	s_add_u32 s2, s8, s2
	s_addc_u32 s3, s9, s3
	s_load_dwordx2 s[2:3], s[2:3], 0x0
	v_mad_u64_u32 v[2:3], s[4:5], s7, v0, v[2:3]
	s_lshl_b64 s[4:5], s[10:11], 4
	s_waitcnt lgkmcnt(0)
	s_add_u32 s2, s2, s4
	v_lshlrev_b64 v[0:1], 4, v[1:2]
	s_addc_u32 s3, s3, s5
	v_mov_b32_e32 v2, s3
	v_add_co_u32_e32 v6, vcc, s2, v0
	v_addc_co_u32_e32 v7, vcc, v2, v1, vcc
	flat_load_dwordx4 v[0:3], v[6:7]
	s_waitcnt vmcnt(0) lgkmcnt(0)
	v_mul_f64 v[4:5], v[2:3], 0
	v_mul_f64 v[8:9], s[0:1], v[2:3]
	v_fma_f64 v[2:3], s[0:1], v[0:1], -v[4:5]
	v_fma_f64 v[4:5], v[0:1], 0, v[8:9]
	flat_store_dwordx4 v[6:7], v[2:5]
.LBB75_2:
	s_endpgm
	.section	.rodata,"a",@progbits
	.p2align	6, 0x0
	.amdhsa_kernel _ZL19rocblas_scal_kernelIlLi256E19rocblas_complex_numIdES1_dPKPS1_EviT3_lT4_lT_li
		.amdhsa_group_segment_fixed_size 0
		.amdhsa_private_segment_fixed_size 0
		.amdhsa_kernarg_size 60
		.amdhsa_user_sgpr_count 6
		.amdhsa_user_sgpr_private_segment_buffer 1
		.amdhsa_user_sgpr_dispatch_ptr 0
		.amdhsa_user_sgpr_queue_ptr 0
		.amdhsa_user_sgpr_kernarg_segment_ptr 1
		.amdhsa_user_sgpr_dispatch_id 0
		.amdhsa_user_sgpr_flat_scratch_init 0
		.amdhsa_user_sgpr_private_segment_size 0
		.amdhsa_uses_dynamic_stack 0
		.amdhsa_system_sgpr_private_segment_wavefront_offset 0
		.amdhsa_system_sgpr_workgroup_id_x 1
		.amdhsa_system_sgpr_workgroup_id_y 0
		.amdhsa_system_sgpr_workgroup_id_z 1
		.amdhsa_system_sgpr_workgroup_info 0
		.amdhsa_system_vgpr_workitem_id 0
		.amdhsa_next_free_vgpr 10
		.amdhsa_next_free_sgpr 12
		.amdhsa_reserve_vcc 1
		.amdhsa_reserve_flat_scratch 0
		.amdhsa_float_round_mode_32 0
		.amdhsa_float_round_mode_16_64 0
		.amdhsa_float_denorm_mode_32 3
		.amdhsa_float_denorm_mode_16_64 3
		.amdhsa_dx10_clamp 1
		.amdhsa_ieee_mode 1
		.amdhsa_fp16_overflow 0
		.amdhsa_exception_fp_ieee_invalid_op 0
		.amdhsa_exception_fp_denorm_src 0
		.amdhsa_exception_fp_ieee_div_zero 0
		.amdhsa_exception_fp_ieee_overflow 0
		.amdhsa_exception_fp_ieee_underflow 0
		.amdhsa_exception_fp_ieee_inexact 0
		.amdhsa_exception_int_div_zero 0
	.end_amdhsa_kernel
	.section	.text._ZL19rocblas_scal_kernelIlLi256E19rocblas_complex_numIdES1_dPKPS1_EviT3_lT4_lT_li,"axG",@progbits,_ZL19rocblas_scal_kernelIlLi256E19rocblas_complex_numIdES1_dPKPS1_EviT3_lT4_lT_li,comdat
.Lfunc_end75:
	.size	_ZL19rocblas_scal_kernelIlLi256E19rocblas_complex_numIdES1_dPKPS1_EviT3_lT4_lT_li, .Lfunc_end75-_ZL19rocblas_scal_kernelIlLi256E19rocblas_complex_numIdES1_dPKPS1_EviT3_lT4_lT_li
                                        ; -- End function
	.set _ZL19rocblas_scal_kernelIlLi256E19rocblas_complex_numIdES1_dPKPS1_EviT3_lT4_lT_li.num_vgpr, 10
	.set _ZL19rocblas_scal_kernelIlLi256E19rocblas_complex_numIdES1_dPKPS1_EviT3_lT4_lT_li.num_agpr, 0
	.set _ZL19rocblas_scal_kernelIlLi256E19rocblas_complex_numIdES1_dPKPS1_EviT3_lT4_lT_li.numbered_sgpr, 12
	.set _ZL19rocblas_scal_kernelIlLi256E19rocblas_complex_numIdES1_dPKPS1_EviT3_lT4_lT_li.num_named_barrier, 0
	.set _ZL19rocblas_scal_kernelIlLi256E19rocblas_complex_numIdES1_dPKPS1_EviT3_lT4_lT_li.private_seg_size, 0
	.set _ZL19rocblas_scal_kernelIlLi256E19rocblas_complex_numIdES1_dPKPS1_EviT3_lT4_lT_li.uses_vcc, 1
	.set _ZL19rocblas_scal_kernelIlLi256E19rocblas_complex_numIdES1_dPKPS1_EviT3_lT4_lT_li.uses_flat_scratch, 0
	.set _ZL19rocblas_scal_kernelIlLi256E19rocblas_complex_numIdES1_dPKPS1_EviT3_lT4_lT_li.has_dyn_sized_stack, 0
	.set _ZL19rocblas_scal_kernelIlLi256E19rocblas_complex_numIdES1_dPKPS1_EviT3_lT4_lT_li.has_recursion, 0
	.set _ZL19rocblas_scal_kernelIlLi256E19rocblas_complex_numIdES1_dPKPS1_EviT3_lT4_lT_li.has_indirect_call, 0
	.section	.AMDGPU.csdata,"",@progbits
; Kernel info:
; codeLenInByte = 208
; TotalNumSgprs: 16
; NumVgprs: 10
; ScratchSize: 0
; MemoryBound: 0
; FloatMode: 240
; IeeeMode: 1
; LDSByteSize: 0 bytes/workgroup (compile time only)
; SGPRBlocks: 1
; VGPRBlocks: 2
; NumSGPRsForWavesPerEU: 16
; NumVGPRsForWavesPerEU: 10
; Occupancy: 10
; WaveLimiterHint : 1
; COMPUTE_PGM_RSRC2:SCRATCH_EN: 0
; COMPUTE_PGM_RSRC2:USER_SGPR: 6
; COMPUTE_PGM_RSRC2:TRAP_HANDLER: 0
; COMPUTE_PGM_RSRC2:TGID_X_EN: 1
; COMPUTE_PGM_RSRC2:TGID_Y_EN: 0
; COMPUTE_PGM_RSRC2:TGID_Z_EN: 1
; COMPUTE_PGM_RSRC2:TIDIG_COMP_CNT: 0
	.section	.text._ZL22rocblas_sscal_2_kernelILi256EDF16_fPKDF16_PDF16_EviT2_lT3_lli,"axG",@progbits,_ZL22rocblas_sscal_2_kernelILi256EDF16_fPKDF16_PDF16_EviT2_lT3_lli,comdat
	.globl	_ZL22rocblas_sscal_2_kernelILi256EDF16_fPKDF16_PDF16_EviT2_lT3_lli ; -- Begin function _ZL22rocblas_sscal_2_kernelILi256EDF16_fPKDF16_PDF16_EviT2_lT3_lli
	.p2align	8
	.type	_ZL22rocblas_sscal_2_kernelILi256EDF16_fPKDF16_PDF16_EviT2_lT3_lli,@function
_ZL22rocblas_sscal_2_kernelILi256EDF16_fPKDF16_PDF16_EviT2_lT3_lli: ; @_ZL22rocblas_sscal_2_kernelILi256EDF16_fPKDF16_PDF16_EviT2_lT3_lli
; %bb.0:
	s_load_dwordx4 s[0:3], s[4:5], 0x8
	v_mov_b32_e32 v1, 0
	s_waitcnt lgkmcnt(0)
	s_mul_i32 s3, s3, s7
	s_mul_hi_u32 s8, s2, s7
	s_add_i32 s3, s8, s3
	s_mul_i32 s2, s2, s7
	s_lshl_b64 s[2:3], s[2:3], 1
	s_add_u32 s0, s0, s2
	s_addc_u32 s1, s1, s3
	global_load_ushort v2, v1, s[0:1]
	s_waitcnt vmcnt(0)
	v_cmp_eq_f16_e32 vcc, 1.0, v2
	s_cbranch_vccnz .LBB76_5
; %bb.1:
	s_load_dwordx4 s[8:11], s[4:5], 0x20
	s_load_dwordx2 s[0:1], s[4:5], 0x18
	s_load_dword s2, s[4:5], 0x0
	v_lshlrev_b32_e32 v0, 1, v0
	v_lshl_or_b32 v0, s6, 9, v0
	s_waitcnt lgkmcnt(0)
	s_mul_i32 s3, s11, s7
	s_mul_hi_u32 s4, s10, s7
	s_add_i32 s5, s4, s3
	s_mul_i32 s4, s10, s7
	s_lshl_b64 s[4:5], s[4:5], 1
	s_add_u32 s3, s0, s4
	s_addc_u32 s4, s1, s5
	s_lshl_b64 s[0:1], s[8:9], 1
	s_add_u32 s3, s3, s0
	v_or_b32_e32 v1, 1, v0
	s_addc_u32 s4, s4, s1
	v_cmp_gt_u32_e32 vcc, s2, v1
	s_and_saveexec_b64 s[0:1], vcc
	s_cbranch_execz .LBB76_3
; %bb.2:
	v_mov_b32_e32 v1, 0
	v_lshlrev_b64 v[3:4], 1, v[0:1]
	v_mov_b32_e32 v1, s4
	v_add_co_u32_e32 v3, vcc, s3, v3
	v_addc_co_u32_e32 v4, vcc, v1, v4, vcc
	global_load_dword v1, v[3:4], off
	s_waitcnt vmcnt(0)
	v_pk_mul_f16 v1, v2, v1 op_sel_hi:[0,1]
	global_store_dword v[3:4], v1, off
.LBB76_3:
	s_or_b64 exec, exec, s[0:1]
	s_bitcmp1_b32 s2, 0
	s_cselect_b64 s[0:1], -1, 0
	s_add_i32 s2, s2, -1
	v_cmp_eq_u32_e32 vcc, s2, v0
	s_and_b64 s[0:1], s[0:1], vcc
	s_and_saveexec_b64 s[6:7], s[0:1]
	s_cbranch_execz .LBB76_5
; %bb.4:
	v_mov_b32_e32 v1, 0
	v_lshlrev_b64 v[0:1], 1, v[0:1]
	v_mov_b32_e32 v3, s4
	v_add_co_u32_e32 v0, vcc, s3, v0
	v_addc_co_u32_e32 v1, vcc, v3, v1, vcc
	global_load_ushort v3, v[0:1], off
	s_waitcnt vmcnt(0)
	v_mul_f16_e32 v2, v2, v3
	global_store_short v[0:1], v2, off
.LBB76_5:
	s_endpgm
	.section	.rodata,"a",@progbits
	.p2align	6, 0x0
	.amdhsa_kernel _ZL22rocblas_sscal_2_kernelILi256EDF16_fPKDF16_PDF16_EviT2_lT3_lli
		.amdhsa_group_segment_fixed_size 0
		.amdhsa_private_segment_fixed_size 0
		.amdhsa_kernarg_size 52
		.amdhsa_user_sgpr_count 6
		.amdhsa_user_sgpr_private_segment_buffer 1
		.amdhsa_user_sgpr_dispatch_ptr 0
		.amdhsa_user_sgpr_queue_ptr 0
		.amdhsa_user_sgpr_kernarg_segment_ptr 1
		.amdhsa_user_sgpr_dispatch_id 0
		.amdhsa_user_sgpr_flat_scratch_init 0
		.amdhsa_user_sgpr_private_segment_size 0
		.amdhsa_uses_dynamic_stack 0
		.amdhsa_system_sgpr_private_segment_wavefront_offset 0
		.amdhsa_system_sgpr_workgroup_id_x 1
		.amdhsa_system_sgpr_workgroup_id_y 0
		.amdhsa_system_sgpr_workgroup_id_z 1
		.amdhsa_system_sgpr_workgroup_info 0
		.amdhsa_system_vgpr_workitem_id 0
		.amdhsa_next_free_vgpr 5
		.amdhsa_next_free_sgpr 12
		.amdhsa_reserve_vcc 1
		.amdhsa_reserve_flat_scratch 0
		.amdhsa_float_round_mode_32 0
		.amdhsa_float_round_mode_16_64 0
		.amdhsa_float_denorm_mode_32 3
		.amdhsa_float_denorm_mode_16_64 3
		.amdhsa_dx10_clamp 1
		.amdhsa_ieee_mode 1
		.amdhsa_fp16_overflow 0
		.amdhsa_exception_fp_ieee_invalid_op 0
		.amdhsa_exception_fp_denorm_src 0
		.amdhsa_exception_fp_ieee_div_zero 0
		.amdhsa_exception_fp_ieee_overflow 0
		.amdhsa_exception_fp_ieee_underflow 0
		.amdhsa_exception_fp_ieee_inexact 0
		.amdhsa_exception_int_div_zero 0
	.end_amdhsa_kernel
	.section	.text._ZL22rocblas_sscal_2_kernelILi256EDF16_fPKDF16_PDF16_EviT2_lT3_lli,"axG",@progbits,_ZL22rocblas_sscal_2_kernelILi256EDF16_fPKDF16_PDF16_EviT2_lT3_lli,comdat
.Lfunc_end76:
	.size	_ZL22rocblas_sscal_2_kernelILi256EDF16_fPKDF16_PDF16_EviT2_lT3_lli, .Lfunc_end76-_ZL22rocblas_sscal_2_kernelILi256EDF16_fPKDF16_PDF16_EviT2_lT3_lli
                                        ; -- End function
	.set _ZL22rocblas_sscal_2_kernelILi256EDF16_fPKDF16_PDF16_EviT2_lT3_lli.num_vgpr, 5
	.set _ZL22rocblas_sscal_2_kernelILi256EDF16_fPKDF16_PDF16_EviT2_lT3_lli.num_agpr, 0
	.set _ZL22rocblas_sscal_2_kernelILi256EDF16_fPKDF16_PDF16_EviT2_lT3_lli.numbered_sgpr, 12
	.set _ZL22rocblas_sscal_2_kernelILi256EDF16_fPKDF16_PDF16_EviT2_lT3_lli.num_named_barrier, 0
	.set _ZL22rocblas_sscal_2_kernelILi256EDF16_fPKDF16_PDF16_EviT2_lT3_lli.private_seg_size, 0
	.set _ZL22rocblas_sscal_2_kernelILi256EDF16_fPKDF16_PDF16_EviT2_lT3_lli.uses_vcc, 1
	.set _ZL22rocblas_sscal_2_kernelILi256EDF16_fPKDF16_PDF16_EviT2_lT3_lli.uses_flat_scratch, 0
	.set _ZL22rocblas_sscal_2_kernelILi256EDF16_fPKDF16_PDF16_EviT2_lT3_lli.has_dyn_sized_stack, 0
	.set _ZL22rocblas_sscal_2_kernelILi256EDF16_fPKDF16_PDF16_EviT2_lT3_lli.has_recursion, 0
	.set _ZL22rocblas_sscal_2_kernelILi256EDF16_fPKDF16_PDF16_EviT2_lT3_lli.has_indirect_call, 0
	.section	.AMDGPU.csdata,"",@progbits
; Kernel info:
; codeLenInByte = 296
; TotalNumSgprs: 16
; NumVgprs: 5
; ScratchSize: 0
; MemoryBound: 0
; FloatMode: 240
; IeeeMode: 1
; LDSByteSize: 0 bytes/workgroup (compile time only)
; SGPRBlocks: 1
; VGPRBlocks: 1
; NumSGPRsForWavesPerEU: 16
; NumVGPRsForWavesPerEU: 5
; Occupancy: 10
; WaveLimiterHint : 0
; COMPUTE_PGM_RSRC2:SCRATCH_EN: 0
; COMPUTE_PGM_RSRC2:USER_SGPR: 6
; COMPUTE_PGM_RSRC2:TRAP_HANDLER: 0
; COMPUTE_PGM_RSRC2:TGID_X_EN: 1
; COMPUTE_PGM_RSRC2:TGID_Y_EN: 0
; COMPUTE_PGM_RSRC2:TGID_Z_EN: 1
; COMPUTE_PGM_RSRC2:TIDIG_COMP_CNT: 0
	.section	.text._ZL22rocblas_sscal_2_kernelILi256EDF16_fDF16_PDF16_EviT2_lT3_lli,"axG",@progbits,_ZL22rocblas_sscal_2_kernelILi256EDF16_fDF16_PDF16_EviT2_lT3_lli,comdat
	.globl	_ZL22rocblas_sscal_2_kernelILi256EDF16_fDF16_PDF16_EviT2_lT3_lli ; -- Begin function _ZL22rocblas_sscal_2_kernelILi256EDF16_fDF16_PDF16_EviT2_lT3_lli
	.p2align	8
	.type	_ZL22rocblas_sscal_2_kernelILi256EDF16_fDF16_PDF16_EviT2_lT3_lli,@function
_ZL22rocblas_sscal_2_kernelILi256EDF16_fDF16_PDF16_EviT2_lT3_lli: ; @_ZL22rocblas_sscal_2_kernelILi256EDF16_fDF16_PDF16_EviT2_lT3_lli
; %bb.0:
	s_load_dwordx2 s[0:1], s[4:5], 0x0
	s_waitcnt lgkmcnt(0)
	v_cmp_eq_f16_e64 s[2:3], s1, 1.0
	s_and_b64 vcc, exec, s[2:3]
	s_cbranch_vccnz .LBB77_5
; %bb.1:
	s_load_dwordx4 s[8:11], s[4:5], 0x18
	s_load_dwordx2 s[2:3], s[4:5], 0x10
	v_lshlrev_b32_e32 v0, 1, v0
	v_lshl_or_b32 v0, s6, 9, v0
	v_or_b32_e32 v1, 1, v0
	s_waitcnt lgkmcnt(0)
	s_mul_i32 s4, s11, s7
	s_mul_hi_u32 s5, s10, s7
	s_add_i32 s5, s5, s4
	s_mul_i32 s4, s10, s7
	s_lshl_b64 s[4:5], s[4:5], 1
	s_add_u32 s4, s2, s4
	s_addc_u32 s5, s3, s5
	s_lshl_b64 s[2:3], s[8:9], 1
	s_add_u32 s4, s4, s2
	s_addc_u32 s5, s5, s3
	v_cmp_gt_u32_e32 vcc, s0, v1
	s_and_saveexec_b64 s[2:3], vcc
	s_cbranch_execz .LBB77_3
; %bb.2:
	v_mov_b32_e32 v1, 0
	v_lshlrev_b64 v[1:2], 1, v[0:1]
	v_mov_b32_e32 v3, s5
	v_add_co_u32_e32 v1, vcc, s4, v1
	v_addc_co_u32_e32 v2, vcc, v3, v2, vcc
	global_load_dword v3, v[1:2], off
	s_waitcnt vmcnt(0)
	v_pk_mul_f16 v3, s1, v3 op_sel_hi:[0,1]
	global_store_dword v[1:2], v3, off
.LBB77_3:
	s_or_b64 exec, exec, s[2:3]
	s_bitcmp1_b32 s0, 0
	s_cselect_b64 s[2:3], -1, 0
	s_add_i32 s0, s0, -1
	v_cmp_eq_u32_e32 vcc, s0, v0
	s_and_b64 s[2:3], s[2:3], vcc
	s_and_saveexec_b64 s[6:7], s[2:3]
	s_cbranch_execz .LBB77_5
; %bb.4:
	v_mov_b32_e32 v1, 0
	v_lshlrev_b64 v[0:1], 1, v[0:1]
	v_mov_b32_e32 v2, s5
	v_add_co_u32_e32 v0, vcc, s4, v0
	v_addc_co_u32_e32 v1, vcc, v2, v1, vcc
	global_load_ushort v2, v[0:1], off
	s_waitcnt vmcnt(0)
	v_mul_f16_e32 v2, s1, v2
	global_store_short v[0:1], v2, off
.LBB77_5:
	s_endpgm
	.section	.rodata,"a",@progbits
	.p2align	6, 0x0
	.amdhsa_kernel _ZL22rocblas_sscal_2_kernelILi256EDF16_fDF16_PDF16_EviT2_lT3_lli
		.amdhsa_group_segment_fixed_size 0
		.amdhsa_private_segment_fixed_size 0
		.amdhsa_kernarg_size 44
		.amdhsa_user_sgpr_count 6
		.amdhsa_user_sgpr_private_segment_buffer 1
		.amdhsa_user_sgpr_dispatch_ptr 0
		.amdhsa_user_sgpr_queue_ptr 0
		.amdhsa_user_sgpr_kernarg_segment_ptr 1
		.amdhsa_user_sgpr_dispatch_id 0
		.amdhsa_user_sgpr_flat_scratch_init 0
		.amdhsa_user_sgpr_private_segment_size 0
		.amdhsa_uses_dynamic_stack 0
		.amdhsa_system_sgpr_private_segment_wavefront_offset 0
		.amdhsa_system_sgpr_workgroup_id_x 1
		.amdhsa_system_sgpr_workgroup_id_y 0
		.amdhsa_system_sgpr_workgroup_id_z 1
		.amdhsa_system_sgpr_workgroup_info 0
		.amdhsa_system_vgpr_workitem_id 0
		.amdhsa_next_free_vgpr 4
		.amdhsa_next_free_sgpr 12
		.amdhsa_reserve_vcc 1
		.amdhsa_reserve_flat_scratch 0
		.amdhsa_float_round_mode_32 0
		.amdhsa_float_round_mode_16_64 0
		.amdhsa_float_denorm_mode_32 3
		.amdhsa_float_denorm_mode_16_64 3
		.amdhsa_dx10_clamp 1
		.amdhsa_ieee_mode 1
		.amdhsa_fp16_overflow 0
		.amdhsa_exception_fp_ieee_invalid_op 0
		.amdhsa_exception_fp_denorm_src 0
		.amdhsa_exception_fp_ieee_div_zero 0
		.amdhsa_exception_fp_ieee_overflow 0
		.amdhsa_exception_fp_ieee_underflow 0
		.amdhsa_exception_fp_ieee_inexact 0
		.amdhsa_exception_int_div_zero 0
	.end_amdhsa_kernel
	.section	.text._ZL22rocblas_sscal_2_kernelILi256EDF16_fDF16_PDF16_EviT2_lT3_lli,"axG",@progbits,_ZL22rocblas_sscal_2_kernelILi256EDF16_fDF16_PDF16_EviT2_lT3_lli,comdat
.Lfunc_end77:
	.size	_ZL22rocblas_sscal_2_kernelILi256EDF16_fDF16_PDF16_EviT2_lT3_lli, .Lfunc_end77-_ZL22rocblas_sscal_2_kernelILi256EDF16_fDF16_PDF16_EviT2_lT3_lli
                                        ; -- End function
	.set _ZL22rocblas_sscal_2_kernelILi256EDF16_fDF16_PDF16_EviT2_lT3_lli.num_vgpr, 4
	.set _ZL22rocblas_sscal_2_kernelILi256EDF16_fDF16_PDF16_EviT2_lT3_lli.num_agpr, 0
	.set _ZL22rocblas_sscal_2_kernelILi256EDF16_fDF16_PDF16_EviT2_lT3_lli.numbered_sgpr, 12
	.set _ZL22rocblas_sscal_2_kernelILi256EDF16_fDF16_PDF16_EviT2_lT3_lli.num_named_barrier, 0
	.set _ZL22rocblas_sscal_2_kernelILi256EDF16_fDF16_PDF16_EviT2_lT3_lli.private_seg_size, 0
	.set _ZL22rocblas_sscal_2_kernelILi256EDF16_fDF16_PDF16_EviT2_lT3_lli.uses_vcc, 1
	.set _ZL22rocblas_sscal_2_kernelILi256EDF16_fDF16_PDF16_EviT2_lT3_lli.uses_flat_scratch, 0
	.set _ZL22rocblas_sscal_2_kernelILi256EDF16_fDF16_PDF16_EviT2_lT3_lli.has_dyn_sized_stack, 0
	.set _ZL22rocblas_sscal_2_kernelILi256EDF16_fDF16_PDF16_EviT2_lT3_lli.has_recursion, 0
	.set _ZL22rocblas_sscal_2_kernelILi256EDF16_fDF16_PDF16_EviT2_lT3_lli.has_indirect_call, 0
	.section	.AMDGPU.csdata,"",@progbits
; Kernel info:
; codeLenInByte = 252
; TotalNumSgprs: 16
; NumVgprs: 4
; ScratchSize: 0
; MemoryBound: 0
; FloatMode: 240
; IeeeMode: 1
; LDSByteSize: 0 bytes/workgroup (compile time only)
; SGPRBlocks: 1
; VGPRBlocks: 0
; NumSGPRsForWavesPerEU: 16
; NumVGPRsForWavesPerEU: 4
; Occupancy: 10
; WaveLimiterHint : 0
; COMPUTE_PGM_RSRC2:SCRATCH_EN: 0
; COMPUTE_PGM_RSRC2:USER_SGPR: 6
; COMPUTE_PGM_RSRC2:TRAP_HANDLER: 0
; COMPUTE_PGM_RSRC2:TGID_X_EN: 1
; COMPUTE_PGM_RSRC2:TGID_Y_EN: 0
; COMPUTE_PGM_RSRC2:TGID_Z_EN: 1
; COMPUTE_PGM_RSRC2:TIDIG_COMP_CNT: 0
	.section	.text._ZL19rocblas_scal_kernelIiLi256EDF16_fPKDF16_PDF16_EviT3_lT4_lT_li,"axG",@progbits,_ZL19rocblas_scal_kernelIiLi256EDF16_fPKDF16_PDF16_EviT3_lT4_lT_li,comdat
	.globl	_ZL19rocblas_scal_kernelIiLi256EDF16_fPKDF16_PDF16_EviT3_lT4_lT_li ; -- Begin function _ZL19rocblas_scal_kernelIiLi256EDF16_fPKDF16_PDF16_EviT3_lT4_lT_li
	.p2align	8
	.type	_ZL19rocblas_scal_kernelIiLi256EDF16_fPKDF16_PDF16_EviT3_lT4_lT_li,@function
_ZL19rocblas_scal_kernelIiLi256EDF16_fPKDF16_PDF16_EviT3_lT4_lT_li: ; @_ZL19rocblas_scal_kernelIiLi256EDF16_fPKDF16_PDF16_EviT3_lT4_lT_li
; %bb.0:
	s_load_dwordx8 s[8:15], s[4:5], 0x8
	v_mov_b32_e32 v1, 0
	v_lshl_or_b32 v0, s6, 8, v0
	s_waitcnt lgkmcnt(0)
	s_mul_i32 s0, s11, s7
	s_mul_hi_u32 s1, s10, s7
	s_add_i32 s1, s1, s0
	s_mul_i32 s0, s10, s7
	s_lshl_b64 s[0:1], s[0:1], 1
	s_add_u32 s0, s8, s0
	s_addc_u32 s1, s9, s1
	global_load_ushort v1, v1, s[0:1]
	s_load_dword s0, s[4:5], 0x0
	s_waitcnt lgkmcnt(0)
	v_cmp_gt_u32_e64 s[0:1], s0, v0
	s_waitcnt vmcnt(0)
	v_cmp_neq_f16_e32 vcc, 1.0, v1
	s_and_b64 s[0:1], s[0:1], vcc
	s_and_saveexec_b64 s[2:3], s[0:1]
	s_cbranch_execz .LBB78_2
; %bb.1:
	s_load_dword s2, s[4:5], 0x28
	s_load_dwordx2 s[0:1], s[4:5], 0x30
	s_waitcnt lgkmcnt(0)
	s_ashr_i32 s4, s2, 31
	s_mul_i32 s1, s1, s7
	s_mul_hi_u32 s3, s0, s7
	s_add_i32 s1, s3, s1
	v_mad_u64_u32 v[2:3], s[2:3], s2, v0, 0
	s_mul_i32 s0, s0, s7
	s_lshl_b64 s[0:1], s[0:1], 1
	s_add_u32 s2, s12, s0
	s_addc_u32 s3, s13, s1
	v_mad_u64_u32 v[3:4], s[0:1], s4, v0, v[3:4]
	s_lshl_b64 s[0:1], s[14:15], 1
	s_add_u32 s0, s2, s0
	v_lshlrev_b64 v[2:3], 1, v[2:3]
	s_addc_u32 s1, s3, s1
	v_mov_b32_e32 v0, s1
	v_add_co_u32_e32 v2, vcc, s0, v2
	v_addc_co_u32_e32 v3, vcc, v0, v3, vcc
	global_load_ushort v0, v[2:3], off
	s_waitcnt vmcnt(0)
	v_mul_f16_e32 v0, v1, v0
	global_store_short v[2:3], v0, off
.LBB78_2:
	s_endpgm
	.section	.rodata,"a",@progbits
	.p2align	6, 0x0
	.amdhsa_kernel _ZL19rocblas_scal_kernelIiLi256EDF16_fPKDF16_PDF16_EviT3_lT4_lT_li
		.amdhsa_group_segment_fixed_size 0
		.amdhsa_private_segment_fixed_size 0
		.amdhsa_kernarg_size 60
		.amdhsa_user_sgpr_count 6
		.amdhsa_user_sgpr_private_segment_buffer 1
		.amdhsa_user_sgpr_dispatch_ptr 0
		.amdhsa_user_sgpr_queue_ptr 0
		.amdhsa_user_sgpr_kernarg_segment_ptr 1
		.amdhsa_user_sgpr_dispatch_id 0
		.amdhsa_user_sgpr_flat_scratch_init 0
		.amdhsa_user_sgpr_private_segment_size 0
		.amdhsa_uses_dynamic_stack 0
		.amdhsa_system_sgpr_private_segment_wavefront_offset 0
		.amdhsa_system_sgpr_workgroup_id_x 1
		.amdhsa_system_sgpr_workgroup_id_y 0
		.amdhsa_system_sgpr_workgroup_id_z 1
		.amdhsa_system_sgpr_workgroup_info 0
		.amdhsa_system_vgpr_workitem_id 0
		.amdhsa_next_free_vgpr 5
		.amdhsa_next_free_sgpr 16
		.amdhsa_reserve_vcc 1
		.amdhsa_reserve_flat_scratch 0
		.amdhsa_float_round_mode_32 0
		.amdhsa_float_round_mode_16_64 0
		.amdhsa_float_denorm_mode_32 3
		.amdhsa_float_denorm_mode_16_64 3
		.amdhsa_dx10_clamp 1
		.amdhsa_ieee_mode 1
		.amdhsa_fp16_overflow 0
		.amdhsa_exception_fp_ieee_invalid_op 0
		.amdhsa_exception_fp_denorm_src 0
		.amdhsa_exception_fp_ieee_div_zero 0
		.amdhsa_exception_fp_ieee_overflow 0
		.amdhsa_exception_fp_ieee_underflow 0
		.amdhsa_exception_fp_ieee_inexact 0
		.amdhsa_exception_int_div_zero 0
	.end_amdhsa_kernel
	.section	.text._ZL19rocblas_scal_kernelIiLi256EDF16_fPKDF16_PDF16_EviT3_lT4_lT_li,"axG",@progbits,_ZL19rocblas_scal_kernelIiLi256EDF16_fPKDF16_PDF16_EviT3_lT4_lT_li,comdat
.Lfunc_end78:
	.size	_ZL19rocblas_scal_kernelIiLi256EDF16_fPKDF16_PDF16_EviT3_lT4_lT_li, .Lfunc_end78-_ZL19rocblas_scal_kernelIiLi256EDF16_fPKDF16_PDF16_EviT3_lT4_lT_li
                                        ; -- End function
	.set _ZL19rocblas_scal_kernelIiLi256EDF16_fPKDF16_PDF16_EviT3_lT4_lT_li.num_vgpr, 5
	.set _ZL19rocblas_scal_kernelIiLi256EDF16_fPKDF16_PDF16_EviT3_lT4_lT_li.num_agpr, 0
	.set _ZL19rocblas_scal_kernelIiLi256EDF16_fPKDF16_PDF16_EviT3_lT4_lT_li.numbered_sgpr, 16
	.set _ZL19rocblas_scal_kernelIiLi256EDF16_fPKDF16_PDF16_EviT3_lT4_lT_li.num_named_barrier, 0
	.set _ZL19rocblas_scal_kernelIiLi256EDF16_fPKDF16_PDF16_EviT3_lT4_lT_li.private_seg_size, 0
	.set _ZL19rocblas_scal_kernelIiLi256EDF16_fPKDF16_PDF16_EviT3_lT4_lT_li.uses_vcc, 1
	.set _ZL19rocblas_scal_kernelIiLi256EDF16_fPKDF16_PDF16_EviT3_lT4_lT_li.uses_flat_scratch, 0
	.set _ZL19rocblas_scal_kernelIiLi256EDF16_fPKDF16_PDF16_EviT3_lT4_lT_li.has_dyn_sized_stack, 0
	.set _ZL19rocblas_scal_kernelIiLi256EDF16_fPKDF16_PDF16_EviT3_lT4_lT_li.has_recursion, 0
	.set _ZL19rocblas_scal_kernelIiLi256EDF16_fPKDF16_PDF16_EviT3_lT4_lT_li.has_indirect_call, 0
	.section	.AMDGPU.csdata,"",@progbits
; Kernel info:
; codeLenInByte = 228
; TotalNumSgprs: 20
; NumVgprs: 5
; ScratchSize: 0
; MemoryBound: 0
; FloatMode: 240
; IeeeMode: 1
; LDSByteSize: 0 bytes/workgroup (compile time only)
; SGPRBlocks: 2
; VGPRBlocks: 1
; NumSGPRsForWavesPerEU: 20
; NumVGPRsForWavesPerEU: 5
; Occupancy: 10
; WaveLimiterHint : 0
; COMPUTE_PGM_RSRC2:SCRATCH_EN: 0
; COMPUTE_PGM_RSRC2:USER_SGPR: 6
; COMPUTE_PGM_RSRC2:TRAP_HANDLER: 0
; COMPUTE_PGM_RSRC2:TGID_X_EN: 1
; COMPUTE_PGM_RSRC2:TGID_Y_EN: 0
; COMPUTE_PGM_RSRC2:TGID_Z_EN: 1
; COMPUTE_PGM_RSRC2:TIDIG_COMP_CNT: 0
	.section	.text._ZL19rocblas_scal_kernelIiLi256EDF16_fDF16_PDF16_EviT3_lT4_lT_li,"axG",@progbits,_ZL19rocblas_scal_kernelIiLi256EDF16_fDF16_PDF16_EviT3_lT4_lT_li,comdat
	.globl	_ZL19rocblas_scal_kernelIiLi256EDF16_fDF16_PDF16_EviT3_lT4_lT_li ; -- Begin function _ZL19rocblas_scal_kernelIiLi256EDF16_fDF16_PDF16_EviT3_lT4_lT_li
	.p2align	8
	.type	_ZL19rocblas_scal_kernelIiLi256EDF16_fDF16_PDF16_EviT3_lT4_lT_li,@function
_ZL19rocblas_scal_kernelIiLi256EDF16_fDF16_PDF16_EviT3_lT4_lT_li: ; @_ZL19rocblas_scal_kernelIiLi256EDF16_fDF16_PDF16_EviT3_lT4_lT_li
; %bb.0:
	s_load_dwordx2 s[0:1], s[4:5], 0x0
	v_lshl_or_b32 v0, s6, 8, v0
	s_waitcnt lgkmcnt(0)
	v_cmp_neq_f16_e64 s[2:3], s1, 1.0
	v_cmp_gt_u32_e32 vcc, s0, v0
	s_and_b64 s[2:3], vcc, s[2:3]
	s_and_saveexec_b64 s[8:9], s[2:3]
	s_cbranch_execz .LBB79_2
; %bb.1:
	s_load_dword s0, s[4:5], 0x20
	s_load_dwordx2 s[2:3], s[4:5], 0x28
	s_load_dwordx4 s[8:11], s[4:5], 0x10
	s_waitcnt lgkmcnt(0)
	s_ashr_i32 s6, s0, 31
	s_mul_i32 s3, s3, s7
	s_mul_hi_u32 s4, s2, s7
	s_add_i32 s3, s4, s3
	v_mad_u64_u32 v[1:2], s[4:5], s0, v0, 0
	s_mul_i32 s2, s2, s7
	s_lshl_b64 s[2:3], s[2:3], 1
	s_add_u32 s0, s8, s2
	s_addc_u32 s4, s9, s3
	v_mad_u64_u32 v[2:3], s[2:3], s6, v0, v[2:3]
	s_lshl_b64 s[2:3], s[10:11], 1
	s_add_u32 s0, s0, s2
	v_lshlrev_b64 v[0:1], 1, v[1:2]
	s_addc_u32 s2, s4, s3
	v_mov_b32_e32 v2, s2
	v_add_co_u32_e32 v0, vcc, s0, v0
	v_addc_co_u32_e32 v1, vcc, v2, v1, vcc
	global_load_ushort v2, v[0:1], off
	s_waitcnt vmcnt(0)
	v_mul_f16_e32 v2, s1, v2
	global_store_short v[0:1], v2, off
.LBB79_2:
	s_endpgm
	.section	.rodata,"a",@progbits
	.p2align	6, 0x0
	.amdhsa_kernel _ZL19rocblas_scal_kernelIiLi256EDF16_fDF16_PDF16_EviT3_lT4_lT_li
		.amdhsa_group_segment_fixed_size 0
		.amdhsa_private_segment_fixed_size 0
		.amdhsa_kernarg_size 52
		.amdhsa_user_sgpr_count 6
		.amdhsa_user_sgpr_private_segment_buffer 1
		.amdhsa_user_sgpr_dispatch_ptr 0
		.amdhsa_user_sgpr_queue_ptr 0
		.amdhsa_user_sgpr_kernarg_segment_ptr 1
		.amdhsa_user_sgpr_dispatch_id 0
		.amdhsa_user_sgpr_flat_scratch_init 0
		.amdhsa_user_sgpr_private_segment_size 0
		.amdhsa_uses_dynamic_stack 0
		.amdhsa_system_sgpr_private_segment_wavefront_offset 0
		.amdhsa_system_sgpr_workgroup_id_x 1
		.amdhsa_system_sgpr_workgroup_id_y 0
		.amdhsa_system_sgpr_workgroup_id_z 1
		.amdhsa_system_sgpr_workgroup_info 0
		.amdhsa_system_vgpr_workitem_id 0
		.amdhsa_next_free_vgpr 4
		.amdhsa_next_free_sgpr 12
		.amdhsa_reserve_vcc 1
		.amdhsa_reserve_flat_scratch 0
		.amdhsa_float_round_mode_32 0
		.amdhsa_float_round_mode_16_64 0
		.amdhsa_float_denorm_mode_32 3
		.amdhsa_float_denorm_mode_16_64 3
		.amdhsa_dx10_clamp 1
		.amdhsa_ieee_mode 1
		.amdhsa_fp16_overflow 0
		.amdhsa_exception_fp_ieee_invalid_op 0
		.amdhsa_exception_fp_denorm_src 0
		.amdhsa_exception_fp_ieee_div_zero 0
		.amdhsa_exception_fp_ieee_overflow 0
		.amdhsa_exception_fp_ieee_underflow 0
		.amdhsa_exception_fp_ieee_inexact 0
		.amdhsa_exception_int_div_zero 0
	.end_amdhsa_kernel
	.section	.text._ZL19rocblas_scal_kernelIiLi256EDF16_fDF16_PDF16_EviT3_lT4_lT_li,"axG",@progbits,_ZL19rocblas_scal_kernelIiLi256EDF16_fDF16_PDF16_EviT3_lT4_lT_li,comdat
.Lfunc_end79:
	.size	_ZL19rocblas_scal_kernelIiLi256EDF16_fDF16_PDF16_EviT3_lT4_lT_li, .Lfunc_end79-_ZL19rocblas_scal_kernelIiLi256EDF16_fDF16_PDF16_EviT3_lT4_lT_li
                                        ; -- End function
	.set _ZL19rocblas_scal_kernelIiLi256EDF16_fDF16_PDF16_EviT3_lT4_lT_li.num_vgpr, 4
	.set _ZL19rocblas_scal_kernelIiLi256EDF16_fDF16_PDF16_EviT3_lT4_lT_li.num_agpr, 0
	.set _ZL19rocblas_scal_kernelIiLi256EDF16_fDF16_PDF16_EviT3_lT4_lT_li.numbered_sgpr, 12
	.set _ZL19rocblas_scal_kernelIiLi256EDF16_fDF16_PDF16_EviT3_lT4_lT_li.num_named_barrier, 0
	.set _ZL19rocblas_scal_kernelIiLi256EDF16_fDF16_PDF16_EviT3_lT4_lT_li.private_seg_size, 0
	.set _ZL19rocblas_scal_kernelIiLi256EDF16_fDF16_PDF16_EviT3_lT4_lT_li.uses_vcc, 1
	.set _ZL19rocblas_scal_kernelIiLi256EDF16_fDF16_PDF16_EviT3_lT4_lT_li.uses_flat_scratch, 0
	.set _ZL19rocblas_scal_kernelIiLi256EDF16_fDF16_PDF16_EviT3_lT4_lT_li.has_dyn_sized_stack, 0
	.set _ZL19rocblas_scal_kernelIiLi256EDF16_fDF16_PDF16_EviT3_lT4_lT_li.has_recursion, 0
	.set _ZL19rocblas_scal_kernelIiLi256EDF16_fDF16_PDF16_EviT3_lT4_lT_li.has_indirect_call, 0
	.section	.AMDGPU.csdata,"",@progbits
; Kernel info:
; codeLenInByte = 180
; TotalNumSgprs: 16
; NumVgprs: 4
; ScratchSize: 0
; MemoryBound: 0
; FloatMode: 240
; IeeeMode: 1
; LDSByteSize: 0 bytes/workgroup (compile time only)
; SGPRBlocks: 1
; VGPRBlocks: 0
; NumSGPRsForWavesPerEU: 16
; NumVGPRsForWavesPerEU: 4
; Occupancy: 10
; WaveLimiterHint : 0
; COMPUTE_PGM_RSRC2:SCRATCH_EN: 0
; COMPUTE_PGM_RSRC2:USER_SGPR: 6
; COMPUTE_PGM_RSRC2:TRAP_HANDLER: 0
; COMPUTE_PGM_RSRC2:TGID_X_EN: 1
; COMPUTE_PGM_RSRC2:TGID_Y_EN: 0
; COMPUTE_PGM_RSRC2:TGID_Z_EN: 1
; COMPUTE_PGM_RSRC2:TIDIG_COMP_CNT: 0
	.section	.text._ZL19rocblas_scal_kernelIlLi256EDF16_fPKDF16_PDF16_EviT3_lT4_lT_li,"axG",@progbits,_ZL19rocblas_scal_kernelIlLi256EDF16_fPKDF16_PDF16_EviT3_lT4_lT_li,comdat
	.globl	_ZL19rocblas_scal_kernelIlLi256EDF16_fPKDF16_PDF16_EviT3_lT4_lT_li ; -- Begin function _ZL19rocblas_scal_kernelIlLi256EDF16_fPKDF16_PDF16_EviT3_lT4_lT_li
	.p2align	8
	.type	_ZL19rocblas_scal_kernelIlLi256EDF16_fPKDF16_PDF16_EviT3_lT4_lT_li,@function
_ZL19rocblas_scal_kernelIlLi256EDF16_fPKDF16_PDF16_EviT3_lT4_lT_li: ; @_ZL19rocblas_scal_kernelIlLi256EDF16_fPKDF16_PDF16_EviT3_lT4_lT_li
; %bb.0:
	s_load_dwordx8 s[8:15], s[4:5], 0x8
	v_mov_b32_e32 v1, 0
	v_lshl_or_b32 v0, s6, 8, v0
	s_waitcnt lgkmcnt(0)
	s_mul_i32 s0, s11, s7
	s_mul_hi_u32 s1, s10, s7
	s_add_i32 s1, s1, s0
	s_mul_i32 s0, s10, s7
	s_lshl_b64 s[0:1], s[0:1], 1
	s_add_u32 s0, s8, s0
	s_addc_u32 s1, s9, s1
	global_load_ushort v1, v1, s[0:1]
	s_load_dword s0, s[4:5], 0x0
	s_waitcnt lgkmcnt(0)
	v_cmp_gt_u32_e64 s[0:1], s0, v0
	s_waitcnt vmcnt(0)
	v_cmp_neq_f16_e32 vcc, 1.0, v1
	s_and_b64 s[0:1], s[0:1], vcc
	s_and_saveexec_b64 s[2:3], s[0:1]
	s_cbranch_execz .LBB80_2
; %bb.1:
	s_load_dwordx4 s[0:3], s[4:5], 0x28
	s_waitcnt lgkmcnt(0)
	v_mad_u64_u32 v[2:3], s[4:5], s0, v0, 0
	s_mul_i32 s3, s3, s7
	s_mul_hi_u32 s6, s2, s7
	s_mul_i32 s2, s2, s7
	s_add_i32 s3, s6, s3
	v_mad_u64_u32 v[3:4], s[0:1], s1, v0, v[3:4]
	s_lshl_b64 s[2:3], s[2:3], 1
	s_add_u32 s2, s12, s2
	s_addc_u32 s3, s13, s3
	s_lshl_b64 s[0:1], s[14:15], 1
	s_add_u32 s0, s2, s0
	v_lshlrev_b64 v[2:3], 1, v[2:3]
	s_addc_u32 s1, s3, s1
	v_mov_b32_e32 v0, s1
	v_add_co_u32_e32 v2, vcc, s0, v2
	v_addc_co_u32_e32 v3, vcc, v0, v3, vcc
	global_load_ushort v0, v[2:3], off
	s_waitcnt vmcnt(0)
	v_mul_f16_e32 v0, v1, v0
	global_store_short v[2:3], v0, off
.LBB80_2:
	s_endpgm
	.section	.rodata,"a",@progbits
	.p2align	6, 0x0
	.amdhsa_kernel _ZL19rocblas_scal_kernelIlLi256EDF16_fPKDF16_PDF16_EviT3_lT4_lT_li
		.amdhsa_group_segment_fixed_size 0
		.amdhsa_private_segment_fixed_size 0
		.amdhsa_kernarg_size 60
		.amdhsa_user_sgpr_count 6
		.amdhsa_user_sgpr_private_segment_buffer 1
		.amdhsa_user_sgpr_dispatch_ptr 0
		.amdhsa_user_sgpr_queue_ptr 0
		.amdhsa_user_sgpr_kernarg_segment_ptr 1
		.amdhsa_user_sgpr_dispatch_id 0
		.amdhsa_user_sgpr_flat_scratch_init 0
		.amdhsa_user_sgpr_private_segment_size 0
		.amdhsa_uses_dynamic_stack 0
		.amdhsa_system_sgpr_private_segment_wavefront_offset 0
		.amdhsa_system_sgpr_workgroup_id_x 1
		.amdhsa_system_sgpr_workgroup_id_y 0
		.amdhsa_system_sgpr_workgroup_id_z 1
		.amdhsa_system_sgpr_workgroup_info 0
		.amdhsa_system_vgpr_workitem_id 0
		.amdhsa_next_free_vgpr 5
		.amdhsa_next_free_sgpr 16
		.amdhsa_reserve_vcc 1
		.amdhsa_reserve_flat_scratch 0
		.amdhsa_float_round_mode_32 0
		.amdhsa_float_round_mode_16_64 0
		.amdhsa_float_denorm_mode_32 3
		.amdhsa_float_denorm_mode_16_64 3
		.amdhsa_dx10_clamp 1
		.amdhsa_ieee_mode 1
		.amdhsa_fp16_overflow 0
		.amdhsa_exception_fp_ieee_invalid_op 0
		.amdhsa_exception_fp_denorm_src 0
		.amdhsa_exception_fp_ieee_div_zero 0
		.amdhsa_exception_fp_ieee_overflow 0
		.amdhsa_exception_fp_ieee_underflow 0
		.amdhsa_exception_fp_ieee_inexact 0
		.amdhsa_exception_int_div_zero 0
	.end_amdhsa_kernel
	.section	.text._ZL19rocblas_scal_kernelIlLi256EDF16_fPKDF16_PDF16_EviT3_lT4_lT_li,"axG",@progbits,_ZL19rocblas_scal_kernelIlLi256EDF16_fPKDF16_PDF16_EviT3_lT4_lT_li,comdat
.Lfunc_end80:
	.size	_ZL19rocblas_scal_kernelIlLi256EDF16_fPKDF16_PDF16_EviT3_lT4_lT_li, .Lfunc_end80-_ZL19rocblas_scal_kernelIlLi256EDF16_fPKDF16_PDF16_EviT3_lT4_lT_li
                                        ; -- End function
	.set _ZL19rocblas_scal_kernelIlLi256EDF16_fPKDF16_PDF16_EviT3_lT4_lT_li.num_vgpr, 5
	.set _ZL19rocblas_scal_kernelIlLi256EDF16_fPKDF16_PDF16_EviT3_lT4_lT_li.num_agpr, 0
	.set _ZL19rocblas_scal_kernelIlLi256EDF16_fPKDF16_PDF16_EviT3_lT4_lT_li.numbered_sgpr, 16
	.set _ZL19rocblas_scal_kernelIlLi256EDF16_fPKDF16_PDF16_EviT3_lT4_lT_li.num_named_barrier, 0
	.set _ZL19rocblas_scal_kernelIlLi256EDF16_fPKDF16_PDF16_EviT3_lT4_lT_li.private_seg_size, 0
	.set _ZL19rocblas_scal_kernelIlLi256EDF16_fPKDF16_PDF16_EviT3_lT4_lT_li.uses_vcc, 1
	.set _ZL19rocblas_scal_kernelIlLi256EDF16_fPKDF16_PDF16_EviT3_lT4_lT_li.uses_flat_scratch, 0
	.set _ZL19rocblas_scal_kernelIlLi256EDF16_fPKDF16_PDF16_EviT3_lT4_lT_li.has_dyn_sized_stack, 0
	.set _ZL19rocblas_scal_kernelIlLi256EDF16_fPKDF16_PDF16_EviT3_lT4_lT_li.has_recursion, 0
	.set _ZL19rocblas_scal_kernelIlLi256EDF16_fPKDF16_PDF16_EviT3_lT4_lT_li.has_indirect_call, 0
	.section	.AMDGPU.csdata,"",@progbits
; Kernel info:
; codeLenInByte = 216
; TotalNumSgprs: 20
; NumVgprs: 5
; ScratchSize: 0
; MemoryBound: 0
; FloatMode: 240
; IeeeMode: 1
; LDSByteSize: 0 bytes/workgroup (compile time only)
; SGPRBlocks: 2
; VGPRBlocks: 1
; NumSGPRsForWavesPerEU: 20
; NumVGPRsForWavesPerEU: 5
; Occupancy: 10
; WaveLimiterHint : 0
; COMPUTE_PGM_RSRC2:SCRATCH_EN: 0
; COMPUTE_PGM_RSRC2:USER_SGPR: 6
; COMPUTE_PGM_RSRC2:TRAP_HANDLER: 0
; COMPUTE_PGM_RSRC2:TGID_X_EN: 1
; COMPUTE_PGM_RSRC2:TGID_Y_EN: 0
; COMPUTE_PGM_RSRC2:TGID_Z_EN: 1
; COMPUTE_PGM_RSRC2:TIDIG_COMP_CNT: 0
	.section	.text._ZL19rocblas_scal_kernelIlLi256EDF16_fDF16_PDF16_EviT3_lT4_lT_li,"axG",@progbits,_ZL19rocblas_scal_kernelIlLi256EDF16_fDF16_PDF16_EviT3_lT4_lT_li,comdat
	.globl	_ZL19rocblas_scal_kernelIlLi256EDF16_fDF16_PDF16_EviT3_lT4_lT_li ; -- Begin function _ZL19rocblas_scal_kernelIlLi256EDF16_fDF16_PDF16_EviT3_lT4_lT_li
	.p2align	8
	.type	_ZL19rocblas_scal_kernelIlLi256EDF16_fDF16_PDF16_EviT3_lT4_lT_li,@function
_ZL19rocblas_scal_kernelIlLi256EDF16_fDF16_PDF16_EviT3_lT4_lT_li: ; @_ZL19rocblas_scal_kernelIlLi256EDF16_fDF16_PDF16_EviT3_lT4_lT_li
; %bb.0:
	s_load_dwordx2 s[0:1], s[4:5], 0x0
	v_lshl_or_b32 v0, s6, 8, v0
	s_waitcnt lgkmcnt(0)
	v_cmp_neq_f16_e64 s[2:3], s1, 1.0
	v_cmp_gt_u32_e32 vcc, s0, v0
	s_and_b64 s[2:3], vcc, s[2:3]
	s_and_saveexec_b64 s[8:9], s[2:3]
	s_cbranch_execz .LBB81_2
; %bb.1:
	s_load_dwordx8 s[8:15], s[4:5], 0x10
	s_waitcnt lgkmcnt(0)
	s_mul_i32 s0, s15, s7
	s_mul_hi_u32 s3, s14, s7
	v_mad_u64_u32 v[1:2], s[4:5], s12, v0, 0
	s_mul_i32 s2, s14, s7
	s_add_i32 s3, s3, s0
	s_lshl_b64 s[2:3], s[2:3], 1
	s_add_u32 s0, s8, s2
	s_addc_u32 s4, s9, s3
	v_mad_u64_u32 v[2:3], s[2:3], s13, v0, v[2:3]
	s_lshl_b64 s[2:3], s[10:11], 1
	s_add_u32 s0, s0, s2
	v_lshlrev_b64 v[0:1], 1, v[1:2]
	s_addc_u32 s2, s4, s3
	v_mov_b32_e32 v2, s2
	v_add_co_u32_e32 v0, vcc, s0, v0
	v_addc_co_u32_e32 v1, vcc, v2, v1, vcc
	global_load_ushort v2, v[0:1], off
	s_waitcnt vmcnt(0)
	v_mul_f16_e32 v2, s1, v2
	global_store_short v[0:1], v2, off
.LBB81_2:
	s_endpgm
	.section	.rodata,"a",@progbits
	.p2align	6, 0x0
	.amdhsa_kernel _ZL19rocblas_scal_kernelIlLi256EDF16_fDF16_PDF16_EviT3_lT4_lT_li
		.amdhsa_group_segment_fixed_size 0
		.amdhsa_private_segment_fixed_size 0
		.amdhsa_kernarg_size 52
		.amdhsa_user_sgpr_count 6
		.amdhsa_user_sgpr_private_segment_buffer 1
		.amdhsa_user_sgpr_dispatch_ptr 0
		.amdhsa_user_sgpr_queue_ptr 0
		.amdhsa_user_sgpr_kernarg_segment_ptr 1
		.amdhsa_user_sgpr_dispatch_id 0
		.amdhsa_user_sgpr_flat_scratch_init 0
		.amdhsa_user_sgpr_private_segment_size 0
		.amdhsa_uses_dynamic_stack 0
		.amdhsa_system_sgpr_private_segment_wavefront_offset 0
		.amdhsa_system_sgpr_workgroup_id_x 1
		.amdhsa_system_sgpr_workgroup_id_y 0
		.amdhsa_system_sgpr_workgroup_id_z 1
		.amdhsa_system_sgpr_workgroup_info 0
		.amdhsa_system_vgpr_workitem_id 0
		.amdhsa_next_free_vgpr 4
		.amdhsa_next_free_sgpr 16
		.amdhsa_reserve_vcc 1
		.amdhsa_reserve_flat_scratch 0
		.amdhsa_float_round_mode_32 0
		.amdhsa_float_round_mode_16_64 0
		.amdhsa_float_denorm_mode_32 3
		.amdhsa_float_denorm_mode_16_64 3
		.amdhsa_dx10_clamp 1
		.amdhsa_ieee_mode 1
		.amdhsa_fp16_overflow 0
		.amdhsa_exception_fp_ieee_invalid_op 0
		.amdhsa_exception_fp_denorm_src 0
		.amdhsa_exception_fp_ieee_div_zero 0
		.amdhsa_exception_fp_ieee_overflow 0
		.amdhsa_exception_fp_ieee_underflow 0
		.amdhsa_exception_fp_ieee_inexact 0
		.amdhsa_exception_int_div_zero 0
	.end_amdhsa_kernel
	.section	.text._ZL19rocblas_scal_kernelIlLi256EDF16_fDF16_PDF16_EviT3_lT4_lT_li,"axG",@progbits,_ZL19rocblas_scal_kernelIlLi256EDF16_fDF16_PDF16_EviT3_lT4_lT_li,comdat
.Lfunc_end81:
	.size	_ZL19rocblas_scal_kernelIlLi256EDF16_fDF16_PDF16_EviT3_lT4_lT_li, .Lfunc_end81-_ZL19rocblas_scal_kernelIlLi256EDF16_fDF16_PDF16_EviT3_lT4_lT_li
                                        ; -- End function
	.set _ZL19rocblas_scal_kernelIlLi256EDF16_fDF16_PDF16_EviT3_lT4_lT_li.num_vgpr, 4
	.set _ZL19rocblas_scal_kernelIlLi256EDF16_fDF16_PDF16_EviT3_lT4_lT_li.num_agpr, 0
	.set _ZL19rocblas_scal_kernelIlLi256EDF16_fDF16_PDF16_EviT3_lT4_lT_li.numbered_sgpr, 16
	.set _ZL19rocblas_scal_kernelIlLi256EDF16_fDF16_PDF16_EviT3_lT4_lT_li.num_named_barrier, 0
	.set _ZL19rocblas_scal_kernelIlLi256EDF16_fDF16_PDF16_EviT3_lT4_lT_li.private_seg_size, 0
	.set _ZL19rocblas_scal_kernelIlLi256EDF16_fDF16_PDF16_EviT3_lT4_lT_li.uses_vcc, 1
	.set _ZL19rocblas_scal_kernelIlLi256EDF16_fDF16_PDF16_EviT3_lT4_lT_li.uses_flat_scratch, 0
	.set _ZL19rocblas_scal_kernelIlLi256EDF16_fDF16_PDF16_EviT3_lT4_lT_li.has_dyn_sized_stack, 0
	.set _ZL19rocblas_scal_kernelIlLi256EDF16_fDF16_PDF16_EviT3_lT4_lT_li.has_recursion, 0
	.set _ZL19rocblas_scal_kernelIlLi256EDF16_fDF16_PDF16_EviT3_lT4_lT_li.has_indirect_call, 0
	.section	.AMDGPU.csdata,"",@progbits
; Kernel info:
; codeLenInByte = 160
; TotalNumSgprs: 20
; NumVgprs: 4
; ScratchSize: 0
; MemoryBound: 0
; FloatMode: 240
; IeeeMode: 1
; LDSByteSize: 0 bytes/workgroup (compile time only)
; SGPRBlocks: 2
; VGPRBlocks: 0
; NumSGPRsForWavesPerEU: 20
; NumVGPRsForWavesPerEU: 4
; Occupancy: 10
; WaveLimiterHint : 0
; COMPUTE_PGM_RSRC2:SCRATCH_EN: 0
; COMPUTE_PGM_RSRC2:USER_SGPR: 6
; COMPUTE_PGM_RSRC2:TRAP_HANDLER: 0
; COMPUTE_PGM_RSRC2:TGID_X_EN: 1
; COMPUTE_PGM_RSRC2:TGID_Y_EN: 0
; COMPUTE_PGM_RSRC2:TGID_Z_EN: 1
; COMPUTE_PGM_RSRC2:TIDIG_COMP_CNT: 0
	.section	.text._ZL22rocblas_sscal_2_kernelILi256EDF16_fPKfPDF16_EviT2_lT3_lli,"axG",@progbits,_ZL22rocblas_sscal_2_kernelILi256EDF16_fPKfPDF16_EviT2_lT3_lli,comdat
	.globl	_ZL22rocblas_sscal_2_kernelILi256EDF16_fPKfPDF16_EviT2_lT3_lli ; -- Begin function _ZL22rocblas_sscal_2_kernelILi256EDF16_fPKfPDF16_EviT2_lT3_lli
	.p2align	8
	.type	_ZL22rocblas_sscal_2_kernelILi256EDF16_fPKfPDF16_EviT2_lT3_lli,@function
_ZL22rocblas_sscal_2_kernelILi256EDF16_fPKfPDF16_EviT2_lT3_lli: ; @_ZL22rocblas_sscal_2_kernelILi256EDF16_fPKfPDF16_EviT2_lT3_lli
; %bb.0:
	s_load_dwordx4 s[0:3], s[4:5], 0x8
	s_waitcnt lgkmcnt(0)
	s_mul_i32 s3, s3, s7
	s_mul_hi_u32 s8, s2, s7
	s_add_i32 s3, s8, s3
	s_mul_i32 s2, s2, s7
	s_lshl_b64 s[2:3], s[2:3], 2
	s_add_u32 s0, s0, s2
	s_addc_u32 s1, s1, s3
	s_load_dword s2, s[0:1], 0x0
	s_waitcnt lgkmcnt(0)
	v_cmp_eq_f32_e64 s[0:1], s2, 1.0
	s_and_b64 vcc, exec, s[0:1]
	s_cbranch_vccnz .LBB82_5
; %bb.1:
	s_load_dwordx4 s[8:11], s[4:5], 0x20
	s_load_dwordx2 s[0:1], s[4:5], 0x18
	s_load_dword s3, s[4:5], 0x0
	v_lshlrev_b32_e32 v0, 1, v0
	v_lshl_or_b32 v0, s6, 9, v0
	s_waitcnt lgkmcnt(0)
	s_mul_i32 s4, s11, s7
	s_mul_hi_u32 s5, s10, s7
	s_add_i32 s5, s5, s4
	s_mul_i32 s4, s10, s7
	s_lshl_b64 s[4:5], s[4:5], 1
	s_add_u32 s4, s0, s4
	s_addc_u32 s5, s1, s5
	s_lshl_b64 s[0:1], s[8:9], 1
	s_add_u32 s4, s4, s0
	v_or_b32_e32 v1, 1, v0
	s_addc_u32 s5, s5, s1
	v_cmp_gt_u32_e32 vcc, s3, v1
	s_and_saveexec_b64 s[0:1], vcc
	s_cbranch_execz .LBB82_3
; %bb.2:
	v_mov_b32_e32 v1, 0
	v_lshlrev_b64 v[1:2], 1, v[0:1]
	v_mov_b32_e32 v3, s5
	v_add_co_u32_e32 v1, vcc, s4, v1
	v_addc_co_u32_e32 v2, vcc, v3, v2, vcc
	global_load_dword v3, v[1:2], off
	s_waitcnt vmcnt(0)
	v_fma_mixlo_f16 v4, s2, v3, 0 op_sel_hi:[0,1,0]
	v_fma_mixhi_f16 v4, s2, v3, 0 op_sel:[0,1,0] op_sel_hi:[0,1,0]
	global_store_dword v[1:2], v4, off
.LBB82_3:
	s_or_b64 exec, exec, s[0:1]
	s_bitcmp1_b32 s3, 0
	s_cselect_b64 s[0:1], -1, 0
	s_add_i32 s3, s3, -1
	v_cmp_eq_u32_e32 vcc, s3, v0
	s_and_b64 s[0:1], s[0:1], vcc
	s_and_saveexec_b64 s[6:7], s[0:1]
	s_cbranch_execz .LBB82_5
; %bb.4:
	v_mov_b32_e32 v1, 0
	v_lshlrev_b64 v[0:1], 1, v[0:1]
	v_mov_b32_e32 v2, s5
	v_add_co_u32_e32 v0, vcc, s4, v0
	v_addc_co_u32_e32 v1, vcc, v2, v1, vcc
	global_load_ushort v2, v[0:1], off
	s_waitcnt vmcnt(0)
	v_fma_mixlo_f16 v2, s2, v2, 0 op_sel_hi:[0,1,0]
	global_store_short v[0:1], v2, off
.LBB82_5:
	s_endpgm
	.section	.rodata,"a",@progbits
	.p2align	6, 0x0
	.amdhsa_kernel _ZL22rocblas_sscal_2_kernelILi256EDF16_fPKfPDF16_EviT2_lT3_lli
		.amdhsa_group_segment_fixed_size 0
		.amdhsa_private_segment_fixed_size 0
		.amdhsa_kernarg_size 52
		.amdhsa_user_sgpr_count 6
		.amdhsa_user_sgpr_private_segment_buffer 1
		.amdhsa_user_sgpr_dispatch_ptr 0
		.amdhsa_user_sgpr_queue_ptr 0
		.amdhsa_user_sgpr_kernarg_segment_ptr 1
		.amdhsa_user_sgpr_dispatch_id 0
		.amdhsa_user_sgpr_flat_scratch_init 0
		.amdhsa_user_sgpr_private_segment_size 0
		.amdhsa_uses_dynamic_stack 0
		.amdhsa_system_sgpr_private_segment_wavefront_offset 0
		.amdhsa_system_sgpr_workgroup_id_x 1
		.amdhsa_system_sgpr_workgroup_id_y 0
		.amdhsa_system_sgpr_workgroup_id_z 1
		.amdhsa_system_sgpr_workgroup_info 0
		.amdhsa_system_vgpr_workitem_id 0
		.amdhsa_next_free_vgpr 5
		.amdhsa_next_free_sgpr 12
		.amdhsa_reserve_vcc 1
		.amdhsa_reserve_flat_scratch 0
		.amdhsa_float_round_mode_32 0
		.amdhsa_float_round_mode_16_64 0
		.amdhsa_float_denorm_mode_32 3
		.amdhsa_float_denorm_mode_16_64 3
		.amdhsa_dx10_clamp 1
		.amdhsa_ieee_mode 1
		.amdhsa_fp16_overflow 0
		.amdhsa_exception_fp_ieee_invalid_op 0
		.amdhsa_exception_fp_denorm_src 0
		.amdhsa_exception_fp_ieee_div_zero 0
		.amdhsa_exception_fp_ieee_overflow 0
		.amdhsa_exception_fp_ieee_underflow 0
		.amdhsa_exception_fp_ieee_inexact 0
		.amdhsa_exception_int_div_zero 0
	.end_amdhsa_kernel
	.section	.text._ZL22rocblas_sscal_2_kernelILi256EDF16_fPKfPDF16_EviT2_lT3_lli,"axG",@progbits,_ZL22rocblas_sscal_2_kernelILi256EDF16_fPKfPDF16_EviT2_lT3_lli,comdat
.Lfunc_end82:
	.size	_ZL22rocblas_sscal_2_kernelILi256EDF16_fPKfPDF16_EviT2_lT3_lli, .Lfunc_end82-_ZL22rocblas_sscal_2_kernelILi256EDF16_fPKfPDF16_EviT2_lT3_lli
                                        ; -- End function
	.set _ZL22rocblas_sscal_2_kernelILi256EDF16_fPKfPDF16_EviT2_lT3_lli.num_vgpr, 5
	.set _ZL22rocblas_sscal_2_kernelILi256EDF16_fPKfPDF16_EviT2_lT3_lli.num_agpr, 0
	.set _ZL22rocblas_sscal_2_kernelILi256EDF16_fPKfPDF16_EviT2_lT3_lli.numbered_sgpr, 12
	.set _ZL22rocblas_sscal_2_kernelILi256EDF16_fPKfPDF16_EviT2_lT3_lli.num_named_barrier, 0
	.set _ZL22rocblas_sscal_2_kernelILi256EDF16_fPKfPDF16_EviT2_lT3_lli.private_seg_size, 0
	.set _ZL22rocblas_sscal_2_kernelILi256EDF16_fPKfPDF16_EviT2_lT3_lli.uses_vcc, 1
	.set _ZL22rocblas_sscal_2_kernelILi256EDF16_fPKfPDF16_EviT2_lT3_lli.uses_flat_scratch, 0
	.set _ZL22rocblas_sscal_2_kernelILi256EDF16_fPKfPDF16_EviT2_lT3_lli.has_dyn_sized_stack, 0
	.set _ZL22rocblas_sscal_2_kernelILi256EDF16_fPKfPDF16_EviT2_lT3_lli.has_recursion, 0
	.set _ZL22rocblas_sscal_2_kernelILi256EDF16_fPKfPDF16_EviT2_lT3_lli.has_indirect_call, 0
	.section	.AMDGPU.csdata,"",@progbits
; Kernel info:
; codeLenInByte = 312
; TotalNumSgprs: 16
; NumVgprs: 5
; ScratchSize: 0
; MemoryBound: 0
; FloatMode: 240
; IeeeMode: 1
; LDSByteSize: 0 bytes/workgroup (compile time only)
; SGPRBlocks: 1
; VGPRBlocks: 1
; NumSGPRsForWavesPerEU: 16
; NumVGPRsForWavesPerEU: 5
; Occupancy: 10
; WaveLimiterHint : 0
; COMPUTE_PGM_RSRC2:SCRATCH_EN: 0
; COMPUTE_PGM_RSRC2:USER_SGPR: 6
; COMPUTE_PGM_RSRC2:TRAP_HANDLER: 0
; COMPUTE_PGM_RSRC2:TGID_X_EN: 1
; COMPUTE_PGM_RSRC2:TGID_Y_EN: 0
; COMPUTE_PGM_RSRC2:TGID_Z_EN: 1
; COMPUTE_PGM_RSRC2:TIDIG_COMP_CNT: 0
	.section	.text._ZL22rocblas_sscal_2_kernelILi256EDF16_ffPDF16_EviT2_lT3_lli,"axG",@progbits,_ZL22rocblas_sscal_2_kernelILi256EDF16_ffPDF16_EviT2_lT3_lli,comdat
	.globl	_ZL22rocblas_sscal_2_kernelILi256EDF16_ffPDF16_EviT2_lT3_lli ; -- Begin function _ZL22rocblas_sscal_2_kernelILi256EDF16_ffPDF16_EviT2_lT3_lli
	.p2align	8
	.type	_ZL22rocblas_sscal_2_kernelILi256EDF16_ffPDF16_EviT2_lT3_lli,@function
_ZL22rocblas_sscal_2_kernelILi256EDF16_ffPDF16_EviT2_lT3_lli: ; @_ZL22rocblas_sscal_2_kernelILi256EDF16_ffPDF16_EviT2_lT3_lli
; %bb.0:
	s_load_dwordx2 s[0:1], s[4:5], 0x0
	s_waitcnt lgkmcnt(0)
	v_cmp_eq_f32_e64 s[2:3], s1, 1.0
	s_and_b64 vcc, exec, s[2:3]
	s_cbranch_vccnz .LBB83_5
; %bb.1:
	s_load_dwordx4 s[8:11], s[4:5], 0x18
	s_load_dwordx2 s[2:3], s[4:5], 0x10
	v_lshlrev_b32_e32 v0, 1, v0
	v_lshl_or_b32 v0, s6, 9, v0
	v_or_b32_e32 v1, 1, v0
	s_waitcnt lgkmcnt(0)
	s_mul_i32 s4, s11, s7
	s_mul_hi_u32 s5, s10, s7
	s_add_i32 s5, s5, s4
	s_mul_i32 s4, s10, s7
	s_lshl_b64 s[4:5], s[4:5], 1
	s_add_u32 s4, s2, s4
	s_addc_u32 s5, s3, s5
	s_lshl_b64 s[2:3], s[8:9], 1
	s_add_u32 s4, s4, s2
	s_addc_u32 s5, s5, s3
	v_cmp_gt_u32_e32 vcc, s0, v1
	s_and_saveexec_b64 s[2:3], vcc
	s_cbranch_execz .LBB83_3
; %bb.2:
	v_mov_b32_e32 v1, 0
	v_lshlrev_b64 v[1:2], 1, v[0:1]
	v_mov_b32_e32 v3, s5
	v_add_co_u32_e32 v1, vcc, s4, v1
	v_addc_co_u32_e32 v2, vcc, v3, v2, vcc
	global_load_dword v3, v[1:2], off
	s_waitcnt vmcnt(0)
	v_fma_mixlo_f16 v4, s1, v3, 0 op_sel_hi:[0,1,0]
	v_fma_mixhi_f16 v4, s1, v3, 0 op_sel:[0,1,0] op_sel_hi:[0,1,0]
	global_store_dword v[1:2], v4, off
.LBB83_3:
	s_or_b64 exec, exec, s[2:3]
	s_bitcmp1_b32 s0, 0
	s_cselect_b64 s[2:3], -1, 0
	s_add_i32 s0, s0, -1
	v_cmp_eq_u32_e32 vcc, s0, v0
	s_and_b64 s[2:3], s[2:3], vcc
	s_and_saveexec_b64 s[6:7], s[2:3]
	s_cbranch_execz .LBB83_5
; %bb.4:
	v_mov_b32_e32 v1, 0
	v_lshlrev_b64 v[0:1], 1, v[0:1]
	v_mov_b32_e32 v2, s5
	v_add_co_u32_e32 v0, vcc, s4, v0
	v_addc_co_u32_e32 v1, vcc, v2, v1, vcc
	global_load_ushort v2, v[0:1], off
	s_waitcnt vmcnt(0)
	v_fma_mixlo_f16 v2, s1, v2, 0 op_sel_hi:[0,1,0]
	global_store_short v[0:1], v2, off
.LBB83_5:
	s_endpgm
	.section	.rodata,"a",@progbits
	.p2align	6, 0x0
	.amdhsa_kernel _ZL22rocblas_sscal_2_kernelILi256EDF16_ffPDF16_EviT2_lT3_lli
		.amdhsa_group_segment_fixed_size 0
		.amdhsa_private_segment_fixed_size 0
		.amdhsa_kernarg_size 44
		.amdhsa_user_sgpr_count 6
		.amdhsa_user_sgpr_private_segment_buffer 1
		.amdhsa_user_sgpr_dispatch_ptr 0
		.amdhsa_user_sgpr_queue_ptr 0
		.amdhsa_user_sgpr_kernarg_segment_ptr 1
		.amdhsa_user_sgpr_dispatch_id 0
		.amdhsa_user_sgpr_flat_scratch_init 0
		.amdhsa_user_sgpr_private_segment_size 0
		.amdhsa_uses_dynamic_stack 0
		.amdhsa_system_sgpr_private_segment_wavefront_offset 0
		.amdhsa_system_sgpr_workgroup_id_x 1
		.amdhsa_system_sgpr_workgroup_id_y 0
		.amdhsa_system_sgpr_workgroup_id_z 1
		.amdhsa_system_sgpr_workgroup_info 0
		.amdhsa_system_vgpr_workitem_id 0
		.amdhsa_next_free_vgpr 5
		.amdhsa_next_free_sgpr 12
		.amdhsa_reserve_vcc 1
		.amdhsa_reserve_flat_scratch 0
		.amdhsa_float_round_mode_32 0
		.amdhsa_float_round_mode_16_64 0
		.amdhsa_float_denorm_mode_32 3
		.amdhsa_float_denorm_mode_16_64 3
		.amdhsa_dx10_clamp 1
		.amdhsa_ieee_mode 1
		.amdhsa_fp16_overflow 0
		.amdhsa_exception_fp_ieee_invalid_op 0
		.amdhsa_exception_fp_denorm_src 0
		.amdhsa_exception_fp_ieee_div_zero 0
		.amdhsa_exception_fp_ieee_overflow 0
		.amdhsa_exception_fp_ieee_underflow 0
		.amdhsa_exception_fp_ieee_inexact 0
		.amdhsa_exception_int_div_zero 0
	.end_amdhsa_kernel
	.section	.text._ZL22rocblas_sscal_2_kernelILi256EDF16_ffPDF16_EviT2_lT3_lli,"axG",@progbits,_ZL22rocblas_sscal_2_kernelILi256EDF16_ffPDF16_EviT2_lT3_lli,comdat
.Lfunc_end83:
	.size	_ZL22rocblas_sscal_2_kernelILi256EDF16_ffPDF16_EviT2_lT3_lli, .Lfunc_end83-_ZL22rocblas_sscal_2_kernelILi256EDF16_ffPDF16_EviT2_lT3_lli
                                        ; -- End function
	.set _ZL22rocblas_sscal_2_kernelILi256EDF16_ffPDF16_EviT2_lT3_lli.num_vgpr, 5
	.set _ZL22rocblas_sscal_2_kernelILi256EDF16_ffPDF16_EviT2_lT3_lli.num_agpr, 0
	.set _ZL22rocblas_sscal_2_kernelILi256EDF16_ffPDF16_EviT2_lT3_lli.numbered_sgpr, 12
	.set _ZL22rocblas_sscal_2_kernelILi256EDF16_ffPDF16_EviT2_lT3_lli.num_named_barrier, 0
	.set _ZL22rocblas_sscal_2_kernelILi256EDF16_ffPDF16_EviT2_lT3_lli.private_seg_size, 0
	.set _ZL22rocblas_sscal_2_kernelILi256EDF16_ffPDF16_EviT2_lT3_lli.uses_vcc, 1
	.set _ZL22rocblas_sscal_2_kernelILi256EDF16_ffPDF16_EviT2_lT3_lli.uses_flat_scratch, 0
	.set _ZL22rocblas_sscal_2_kernelILi256EDF16_ffPDF16_EviT2_lT3_lli.has_dyn_sized_stack, 0
	.set _ZL22rocblas_sscal_2_kernelILi256EDF16_ffPDF16_EviT2_lT3_lli.has_recursion, 0
	.set _ZL22rocblas_sscal_2_kernelILi256EDF16_ffPDF16_EviT2_lT3_lli.has_indirect_call, 0
	.section	.AMDGPU.csdata,"",@progbits
; Kernel info:
; codeLenInByte = 264
; TotalNumSgprs: 16
; NumVgprs: 5
; ScratchSize: 0
; MemoryBound: 0
; FloatMode: 240
; IeeeMode: 1
; LDSByteSize: 0 bytes/workgroup (compile time only)
; SGPRBlocks: 1
; VGPRBlocks: 1
; NumSGPRsForWavesPerEU: 16
; NumVGPRsForWavesPerEU: 5
; Occupancy: 10
; WaveLimiterHint : 0
; COMPUTE_PGM_RSRC2:SCRATCH_EN: 0
; COMPUTE_PGM_RSRC2:USER_SGPR: 6
; COMPUTE_PGM_RSRC2:TRAP_HANDLER: 0
; COMPUTE_PGM_RSRC2:TGID_X_EN: 1
; COMPUTE_PGM_RSRC2:TGID_Y_EN: 0
; COMPUTE_PGM_RSRC2:TGID_Z_EN: 1
; COMPUTE_PGM_RSRC2:TIDIG_COMP_CNT: 0
	.section	.text._ZL19rocblas_scal_kernelIiLi256EDF16_fPKfPDF16_EviT3_lT4_lT_li,"axG",@progbits,_ZL19rocblas_scal_kernelIiLi256EDF16_fPKfPDF16_EviT3_lT4_lT_li,comdat
	.globl	_ZL19rocblas_scal_kernelIiLi256EDF16_fPKfPDF16_EviT3_lT4_lT_li ; -- Begin function _ZL19rocblas_scal_kernelIiLi256EDF16_fPKfPDF16_EviT3_lT4_lT_li
	.p2align	8
	.type	_ZL19rocblas_scal_kernelIiLi256EDF16_fPKfPDF16_EviT3_lT4_lT_li,@function
_ZL19rocblas_scal_kernelIiLi256EDF16_fPKfPDF16_EviT3_lT4_lT_li: ; @_ZL19rocblas_scal_kernelIiLi256EDF16_fPKfPDF16_EviT3_lT4_lT_li
; %bb.0:
	s_load_dwordx8 s[8:15], s[4:5], 0x8
	v_lshl_or_b32 v0, s6, 8, v0
	s_waitcnt lgkmcnt(0)
	s_mul_i32 s0, s11, s7
	s_mul_hi_u32 s1, s10, s7
	s_add_i32 s1, s1, s0
	s_mul_i32 s0, s10, s7
	s_lshl_b64 s[0:1], s[0:1], 2
	s_add_u32 s2, s8, s0
	s_addc_u32 s3, s9, s1
	s_load_dword s0, s[2:3], 0x0
	s_load_dword s1, s[4:5], 0x0
	s_waitcnt lgkmcnt(0)
	v_cmp_neq_f32_e64 s[2:3], s0, 1.0
	v_cmp_gt_u32_e32 vcc, s1, v0
	s_and_b64 s[2:3], vcc, s[2:3]
	s_and_saveexec_b64 s[8:9], s[2:3]
	s_cbranch_execz .LBB84_2
; %bb.1:
	s_load_dword s1, s[4:5], 0x28
	s_load_dwordx2 s[2:3], s[4:5], 0x30
	s_waitcnt lgkmcnt(0)
	s_ashr_i32 s6, s1, 31
	s_mul_i32 s3, s3, s7
	s_mul_hi_u32 s4, s2, s7
	s_add_i32 s3, s4, s3
	v_mad_u64_u32 v[1:2], s[4:5], s1, v0, 0
	s_mul_i32 s2, s2, s7
	s_lshl_b64 s[2:3], s[2:3], 1
	s_add_u32 s1, s12, s2
	s_addc_u32 s4, s13, s3
	v_mad_u64_u32 v[2:3], s[2:3], s6, v0, v[2:3]
	s_lshl_b64 s[2:3], s[14:15], 1
	s_add_u32 s1, s1, s2
	v_lshlrev_b64 v[0:1], 1, v[1:2]
	s_addc_u32 s2, s4, s3
	v_mov_b32_e32 v2, s2
	v_add_co_u32_e32 v0, vcc, s1, v0
	v_addc_co_u32_e32 v1, vcc, v2, v1, vcc
	global_load_ushort v2, v[0:1], off
	s_waitcnt vmcnt(0)
	v_fma_mixlo_f16 v2, s0, v2, 0 op_sel_hi:[0,1,0]
	global_store_short v[0:1], v2, off
.LBB84_2:
	s_endpgm
	.section	.rodata,"a",@progbits
	.p2align	6, 0x0
	.amdhsa_kernel _ZL19rocblas_scal_kernelIiLi256EDF16_fPKfPDF16_EviT3_lT4_lT_li
		.amdhsa_group_segment_fixed_size 0
		.amdhsa_private_segment_fixed_size 0
		.amdhsa_kernarg_size 60
		.amdhsa_user_sgpr_count 6
		.amdhsa_user_sgpr_private_segment_buffer 1
		.amdhsa_user_sgpr_dispatch_ptr 0
		.amdhsa_user_sgpr_queue_ptr 0
		.amdhsa_user_sgpr_kernarg_segment_ptr 1
		.amdhsa_user_sgpr_dispatch_id 0
		.amdhsa_user_sgpr_flat_scratch_init 0
		.amdhsa_user_sgpr_private_segment_size 0
		.amdhsa_uses_dynamic_stack 0
		.amdhsa_system_sgpr_private_segment_wavefront_offset 0
		.amdhsa_system_sgpr_workgroup_id_x 1
		.amdhsa_system_sgpr_workgroup_id_y 0
		.amdhsa_system_sgpr_workgroup_id_z 1
		.amdhsa_system_sgpr_workgroup_info 0
		.amdhsa_system_vgpr_workitem_id 0
		.amdhsa_next_free_vgpr 4
		.amdhsa_next_free_sgpr 16
		.amdhsa_reserve_vcc 1
		.amdhsa_reserve_flat_scratch 0
		.amdhsa_float_round_mode_32 0
		.amdhsa_float_round_mode_16_64 0
		.amdhsa_float_denorm_mode_32 3
		.amdhsa_float_denorm_mode_16_64 3
		.amdhsa_dx10_clamp 1
		.amdhsa_ieee_mode 1
		.amdhsa_fp16_overflow 0
		.amdhsa_exception_fp_ieee_invalid_op 0
		.amdhsa_exception_fp_denorm_src 0
		.amdhsa_exception_fp_ieee_div_zero 0
		.amdhsa_exception_fp_ieee_overflow 0
		.amdhsa_exception_fp_ieee_underflow 0
		.amdhsa_exception_fp_ieee_inexact 0
		.amdhsa_exception_int_div_zero 0
	.end_amdhsa_kernel
	.section	.text._ZL19rocblas_scal_kernelIiLi256EDF16_fPKfPDF16_EviT3_lT4_lT_li,"axG",@progbits,_ZL19rocblas_scal_kernelIiLi256EDF16_fPKfPDF16_EviT3_lT4_lT_li,comdat
.Lfunc_end84:
	.size	_ZL19rocblas_scal_kernelIiLi256EDF16_fPKfPDF16_EviT3_lT4_lT_li, .Lfunc_end84-_ZL19rocblas_scal_kernelIiLi256EDF16_fPKfPDF16_EviT3_lT4_lT_li
                                        ; -- End function
	.set _ZL19rocblas_scal_kernelIiLi256EDF16_fPKfPDF16_EviT3_lT4_lT_li.num_vgpr, 4
	.set _ZL19rocblas_scal_kernelIiLi256EDF16_fPKfPDF16_EviT3_lT4_lT_li.num_agpr, 0
	.set _ZL19rocblas_scal_kernelIiLi256EDF16_fPKfPDF16_EviT3_lT4_lT_li.numbered_sgpr, 16
	.set _ZL19rocblas_scal_kernelIiLi256EDF16_fPKfPDF16_EviT3_lT4_lT_li.num_named_barrier, 0
	.set _ZL19rocblas_scal_kernelIiLi256EDF16_fPKfPDF16_EviT3_lT4_lT_li.private_seg_size, 0
	.set _ZL19rocblas_scal_kernelIiLi256EDF16_fPKfPDF16_EviT3_lT4_lT_li.uses_vcc, 1
	.set _ZL19rocblas_scal_kernelIiLi256EDF16_fPKfPDF16_EviT3_lT4_lT_li.uses_flat_scratch, 0
	.set _ZL19rocblas_scal_kernelIiLi256EDF16_fPKfPDF16_EviT3_lT4_lT_li.has_dyn_sized_stack, 0
	.set _ZL19rocblas_scal_kernelIiLi256EDF16_fPKfPDF16_EviT3_lT4_lT_li.has_recursion, 0
	.set _ZL19rocblas_scal_kernelIiLi256EDF16_fPKfPDF16_EviT3_lT4_lT_li.has_indirect_call, 0
	.section	.AMDGPU.csdata,"",@progbits
; Kernel info:
; codeLenInByte = 224
; TotalNumSgprs: 20
; NumVgprs: 4
; ScratchSize: 0
; MemoryBound: 0
; FloatMode: 240
; IeeeMode: 1
; LDSByteSize: 0 bytes/workgroup (compile time only)
; SGPRBlocks: 2
; VGPRBlocks: 0
; NumSGPRsForWavesPerEU: 20
; NumVGPRsForWavesPerEU: 4
; Occupancy: 10
; WaveLimiterHint : 0
; COMPUTE_PGM_RSRC2:SCRATCH_EN: 0
; COMPUTE_PGM_RSRC2:USER_SGPR: 6
; COMPUTE_PGM_RSRC2:TRAP_HANDLER: 0
; COMPUTE_PGM_RSRC2:TGID_X_EN: 1
; COMPUTE_PGM_RSRC2:TGID_Y_EN: 0
; COMPUTE_PGM_RSRC2:TGID_Z_EN: 1
; COMPUTE_PGM_RSRC2:TIDIG_COMP_CNT: 0
	.section	.text._ZL19rocblas_scal_kernelIiLi256EDF16_ffPDF16_EviT3_lT4_lT_li,"axG",@progbits,_ZL19rocblas_scal_kernelIiLi256EDF16_ffPDF16_EviT3_lT4_lT_li,comdat
	.globl	_ZL19rocblas_scal_kernelIiLi256EDF16_ffPDF16_EviT3_lT4_lT_li ; -- Begin function _ZL19rocblas_scal_kernelIiLi256EDF16_ffPDF16_EviT3_lT4_lT_li
	.p2align	8
	.type	_ZL19rocblas_scal_kernelIiLi256EDF16_ffPDF16_EviT3_lT4_lT_li,@function
_ZL19rocblas_scal_kernelIiLi256EDF16_ffPDF16_EviT3_lT4_lT_li: ; @_ZL19rocblas_scal_kernelIiLi256EDF16_ffPDF16_EviT3_lT4_lT_li
; %bb.0:
	s_load_dwordx2 s[0:1], s[4:5], 0x0
	v_lshl_or_b32 v0, s6, 8, v0
	s_waitcnt lgkmcnt(0)
	v_cmp_neq_f32_e64 s[2:3], s1, 1.0
	v_cmp_gt_u32_e32 vcc, s0, v0
	s_and_b64 s[2:3], vcc, s[2:3]
	s_and_saveexec_b64 s[8:9], s[2:3]
	s_cbranch_execz .LBB85_2
; %bb.1:
	s_load_dword s0, s[4:5], 0x20
	s_load_dwordx2 s[2:3], s[4:5], 0x28
	s_load_dwordx4 s[8:11], s[4:5], 0x10
	s_waitcnt lgkmcnt(0)
	s_ashr_i32 s6, s0, 31
	s_mul_i32 s3, s3, s7
	s_mul_hi_u32 s4, s2, s7
	s_add_i32 s3, s4, s3
	v_mad_u64_u32 v[1:2], s[4:5], s0, v0, 0
	s_mul_i32 s2, s2, s7
	s_lshl_b64 s[2:3], s[2:3], 1
	s_add_u32 s0, s8, s2
	s_addc_u32 s4, s9, s3
	v_mad_u64_u32 v[2:3], s[2:3], s6, v0, v[2:3]
	s_lshl_b64 s[2:3], s[10:11], 1
	s_add_u32 s0, s0, s2
	v_lshlrev_b64 v[0:1], 1, v[1:2]
	s_addc_u32 s2, s4, s3
	v_mov_b32_e32 v2, s2
	v_add_co_u32_e32 v0, vcc, s0, v0
	v_addc_co_u32_e32 v1, vcc, v2, v1, vcc
	global_load_ushort v2, v[0:1], off
	s_waitcnt vmcnt(0)
	v_fma_mixlo_f16 v2, s1, v2, 0 op_sel_hi:[0,1,0]
	global_store_short v[0:1], v2, off
.LBB85_2:
	s_endpgm
	.section	.rodata,"a",@progbits
	.p2align	6, 0x0
	.amdhsa_kernel _ZL19rocblas_scal_kernelIiLi256EDF16_ffPDF16_EviT3_lT4_lT_li
		.amdhsa_group_segment_fixed_size 0
		.amdhsa_private_segment_fixed_size 0
		.amdhsa_kernarg_size 52
		.amdhsa_user_sgpr_count 6
		.amdhsa_user_sgpr_private_segment_buffer 1
		.amdhsa_user_sgpr_dispatch_ptr 0
		.amdhsa_user_sgpr_queue_ptr 0
		.amdhsa_user_sgpr_kernarg_segment_ptr 1
		.amdhsa_user_sgpr_dispatch_id 0
		.amdhsa_user_sgpr_flat_scratch_init 0
		.amdhsa_user_sgpr_private_segment_size 0
		.amdhsa_uses_dynamic_stack 0
		.amdhsa_system_sgpr_private_segment_wavefront_offset 0
		.amdhsa_system_sgpr_workgroup_id_x 1
		.amdhsa_system_sgpr_workgroup_id_y 0
		.amdhsa_system_sgpr_workgroup_id_z 1
		.amdhsa_system_sgpr_workgroup_info 0
		.amdhsa_system_vgpr_workitem_id 0
		.amdhsa_next_free_vgpr 4
		.amdhsa_next_free_sgpr 12
		.amdhsa_reserve_vcc 1
		.amdhsa_reserve_flat_scratch 0
		.amdhsa_float_round_mode_32 0
		.amdhsa_float_round_mode_16_64 0
		.amdhsa_float_denorm_mode_32 3
		.amdhsa_float_denorm_mode_16_64 3
		.amdhsa_dx10_clamp 1
		.amdhsa_ieee_mode 1
		.amdhsa_fp16_overflow 0
		.amdhsa_exception_fp_ieee_invalid_op 0
		.amdhsa_exception_fp_denorm_src 0
		.amdhsa_exception_fp_ieee_div_zero 0
		.amdhsa_exception_fp_ieee_overflow 0
		.amdhsa_exception_fp_ieee_underflow 0
		.amdhsa_exception_fp_ieee_inexact 0
		.amdhsa_exception_int_div_zero 0
	.end_amdhsa_kernel
	.section	.text._ZL19rocblas_scal_kernelIiLi256EDF16_ffPDF16_EviT3_lT4_lT_li,"axG",@progbits,_ZL19rocblas_scal_kernelIiLi256EDF16_ffPDF16_EviT3_lT4_lT_li,comdat
.Lfunc_end85:
	.size	_ZL19rocblas_scal_kernelIiLi256EDF16_ffPDF16_EviT3_lT4_lT_li, .Lfunc_end85-_ZL19rocblas_scal_kernelIiLi256EDF16_ffPDF16_EviT3_lT4_lT_li
                                        ; -- End function
	.set _ZL19rocblas_scal_kernelIiLi256EDF16_ffPDF16_EviT3_lT4_lT_li.num_vgpr, 4
	.set _ZL19rocblas_scal_kernelIiLi256EDF16_ffPDF16_EviT3_lT4_lT_li.num_agpr, 0
	.set _ZL19rocblas_scal_kernelIiLi256EDF16_ffPDF16_EviT3_lT4_lT_li.numbered_sgpr, 12
	.set _ZL19rocblas_scal_kernelIiLi256EDF16_ffPDF16_EviT3_lT4_lT_li.num_named_barrier, 0
	.set _ZL19rocblas_scal_kernelIiLi256EDF16_ffPDF16_EviT3_lT4_lT_li.private_seg_size, 0
	.set _ZL19rocblas_scal_kernelIiLi256EDF16_ffPDF16_EviT3_lT4_lT_li.uses_vcc, 1
	.set _ZL19rocblas_scal_kernelIiLi256EDF16_ffPDF16_EviT3_lT4_lT_li.uses_flat_scratch, 0
	.set _ZL19rocblas_scal_kernelIiLi256EDF16_ffPDF16_EviT3_lT4_lT_li.has_dyn_sized_stack, 0
	.set _ZL19rocblas_scal_kernelIiLi256EDF16_ffPDF16_EviT3_lT4_lT_li.has_recursion, 0
	.set _ZL19rocblas_scal_kernelIiLi256EDF16_ffPDF16_EviT3_lT4_lT_li.has_indirect_call, 0
	.section	.AMDGPU.csdata,"",@progbits
; Kernel info:
; codeLenInByte = 184
; TotalNumSgprs: 16
; NumVgprs: 4
; ScratchSize: 0
; MemoryBound: 0
; FloatMode: 240
; IeeeMode: 1
; LDSByteSize: 0 bytes/workgroup (compile time only)
; SGPRBlocks: 1
; VGPRBlocks: 0
; NumSGPRsForWavesPerEU: 16
; NumVGPRsForWavesPerEU: 4
; Occupancy: 10
; WaveLimiterHint : 0
; COMPUTE_PGM_RSRC2:SCRATCH_EN: 0
; COMPUTE_PGM_RSRC2:USER_SGPR: 6
; COMPUTE_PGM_RSRC2:TRAP_HANDLER: 0
; COMPUTE_PGM_RSRC2:TGID_X_EN: 1
; COMPUTE_PGM_RSRC2:TGID_Y_EN: 0
; COMPUTE_PGM_RSRC2:TGID_Z_EN: 1
; COMPUTE_PGM_RSRC2:TIDIG_COMP_CNT: 0
	.section	.text._ZL19rocblas_scal_kernelIlLi256EDF16_fPKfPDF16_EviT3_lT4_lT_li,"axG",@progbits,_ZL19rocblas_scal_kernelIlLi256EDF16_fPKfPDF16_EviT3_lT4_lT_li,comdat
	.globl	_ZL19rocblas_scal_kernelIlLi256EDF16_fPKfPDF16_EviT3_lT4_lT_li ; -- Begin function _ZL19rocblas_scal_kernelIlLi256EDF16_fPKfPDF16_EviT3_lT4_lT_li
	.p2align	8
	.type	_ZL19rocblas_scal_kernelIlLi256EDF16_fPKfPDF16_EviT3_lT4_lT_li,@function
_ZL19rocblas_scal_kernelIlLi256EDF16_fPKfPDF16_EviT3_lT4_lT_li: ; @_ZL19rocblas_scal_kernelIlLi256EDF16_fPKfPDF16_EviT3_lT4_lT_li
; %bb.0:
	s_load_dwordx8 s[8:15], s[4:5], 0x8
	v_lshl_or_b32 v0, s6, 8, v0
	s_waitcnt lgkmcnt(0)
	s_mul_i32 s0, s11, s7
	s_mul_hi_u32 s1, s10, s7
	s_add_i32 s1, s1, s0
	s_mul_i32 s0, s10, s7
	s_lshl_b64 s[0:1], s[0:1], 2
	s_add_u32 s2, s8, s0
	s_addc_u32 s3, s9, s1
	s_load_dword s0, s[2:3], 0x0
	s_load_dword s1, s[4:5], 0x0
	s_waitcnt lgkmcnt(0)
	v_cmp_neq_f32_e64 s[2:3], s0, 1.0
	v_cmp_gt_u32_e32 vcc, s1, v0
	s_and_b64 s[2:3], vcc, s[2:3]
	s_and_saveexec_b64 s[8:9], s[2:3]
	s_cbranch_execz .LBB86_2
; %bb.1:
	s_load_dwordx4 s[8:11], s[4:5], 0x28
	s_waitcnt lgkmcnt(0)
	s_mul_i32 s1, s11, s7
	s_mul_hi_u32 s3, s10, s7
	v_mad_u64_u32 v[1:2], s[4:5], s8, v0, 0
	s_mul_i32 s2, s10, s7
	s_add_i32 s3, s3, s1
	s_lshl_b64 s[2:3], s[2:3], 1
	s_add_u32 s1, s12, s2
	s_addc_u32 s4, s13, s3
	v_mad_u64_u32 v[2:3], s[2:3], s9, v0, v[2:3]
	s_lshl_b64 s[2:3], s[14:15], 1
	s_add_u32 s1, s1, s2
	v_lshlrev_b64 v[0:1], 1, v[1:2]
	s_addc_u32 s2, s4, s3
	v_mov_b32_e32 v2, s2
	v_add_co_u32_e32 v0, vcc, s1, v0
	v_addc_co_u32_e32 v1, vcc, v2, v1, vcc
	global_load_ushort v2, v[0:1], off
	s_waitcnt vmcnt(0)
	v_fma_mixlo_f16 v2, s0, v2, 0 op_sel_hi:[0,1,0]
	global_store_short v[0:1], v2, off
.LBB86_2:
	s_endpgm
	.section	.rodata,"a",@progbits
	.p2align	6, 0x0
	.amdhsa_kernel _ZL19rocblas_scal_kernelIlLi256EDF16_fPKfPDF16_EviT3_lT4_lT_li
		.amdhsa_group_segment_fixed_size 0
		.amdhsa_private_segment_fixed_size 0
		.amdhsa_kernarg_size 60
		.amdhsa_user_sgpr_count 6
		.amdhsa_user_sgpr_private_segment_buffer 1
		.amdhsa_user_sgpr_dispatch_ptr 0
		.amdhsa_user_sgpr_queue_ptr 0
		.amdhsa_user_sgpr_kernarg_segment_ptr 1
		.amdhsa_user_sgpr_dispatch_id 0
		.amdhsa_user_sgpr_flat_scratch_init 0
		.amdhsa_user_sgpr_private_segment_size 0
		.amdhsa_uses_dynamic_stack 0
		.amdhsa_system_sgpr_private_segment_wavefront_offset 0
		.amdhsa_system_sgpr_workgroup_id_x 1
		.amdhsa_system_sgpr_workgroup_id_y 0
		.amdhsa_system_sgpr_workgroup_id_z 1
		.amdhsa_system_sgpr_workgroup_info 0
		.amdhsa_system_vgpr_workitem_id 0
		.amdhsa_next_free_vgpr 4
		.amdhsa_next_free_sgpr 16
		.amdhsa_reserve_vcc 1
		.amdhsa_reserve_flat_scratch 0
		.amdhsa_float_round_mode_32 0
		.amdhsa_float_round_mode_16_64 0
		.amdhsa_float_denorm_mode_32 3
		.amdhsa_float_denorm_mode_16_64 3
		.amdhsa_dx10_clamp 1
		.amdhsa_ieee_mode 1
		.amdhsa_fp16_overflow 0
		.amdhsa_exception_fp_ieee_invalid_op 0
		.amdhsa_exception_fp_denorm_src 0
		.amdhsa_exception_fp_ieee_div_zero 0
		.amdhsa_exception_fp_ieee_overflow 0
		.amdhsa_exception_fp_ieee_underflow 0
		.amdhsa_exception_fp_ieee_inexact 0
		.amdhsa_exception_int_div_zero 0
	.end_amdhsa_kernel
	.section	.text._ZL19rocblas_scal_kernelIlLi256EDF16_fPKfPDF16_EviT3_lT4_lT_li,"axG",@progbits,_ZL19rocblas_scal_kernelIlLi256EDF16_fPKfPDF16_EviT3_lT4_lT_li,comdat
.Lfunc_end86:
	.size	_ZL19rocblas_scal_kernelIlLi256EDF16_fPKfPDF16_EviT3_lT4_lT_li, .Lfunc_end86-_ZL19rocblas_scal_kernelIlLi256EDF16_fPKfPDF16_EviT3_lT4_lT_li
                                        ; -- End function
	.set _ZL19rocblas_scal_kernelIlLi256EDF16_fPKfPDF16_EviT3_lT4_lT_li.num_vgpr, 4
	.set _ZL19rocblas_scal_kernelIlLi256EDF16_fPKfPDF16_EviT3_lT4_lT_li.num_agpr, 0
	.set _ZL19rocblas_scal_kernelIlLi256EDF16_fPKfPDF16_EviT3_lT4_lT_li.numbered_sgpr, 16
	.set _ZL19rocblas_scal_kernelIlLi256EDF16_fPKfPDF16_EviT3_lT4_lT_li.num_named_barrier, 0
	.set _ZL19rocblas_scal_kernelIlLi256EDF16_fPKfPDF16_EviT3_lT4_lT_li.private_seg_size, 0
	.set _ZL19rocblas_scal_kernelIlLi256EDF16_fPKfPDF16_EviT3_lT4_lT_li.uses_vcc, 1
	.set _ZL19rocblas_scal_kernelIlLi256EDF16_fPKfPDF16_EviT3_lT4_lT_li.uses_flat_scratch, 0
	.set _ZL19rocblas_scal_kernelIlLi256EDF16_fPKfPDF16_EviT3_lT4_lT_li.has_dyn_sized_stack, 0
	.set _ZL19rocblas_scal_kernelIlLi256EDF16_fPKfPDF16_EviT3_lT4_lT_li.has_recursion, 0
	.set _ZL19rocblas_scal_kernelIlLi256EDF16_fPKfPDF16_EviT3_lT4_lT_li.has_indirect_call, 0
	.section	.AMDGPU.csdata,"",@progbits
; Kernel info:
; codeLenInByte = 212
; TotalNumSgprs: 20
; NumVgprs: 4
; ScratchSize: 0
; MemoryBound: 0
; FloatMode: 240
; IeeeMode: 1
; LDSByteSize: 0 bytes/workgroup (compile time only)
; SGPRBlocks: 2
; VGPRBlocks: 0
; NumSGPRsForWavesPerEU: 20
; NumVGPRsForWavesPerEU: 4
; Occupancy: 10
; WaveLimiterHint : 0
; COMPUTE_PGM_RSRC2:SCRATCH_EN: 0
; COMPUTE_PGM_RSRC2:USER_SGPR: 6
; COMPUTE_PGM_RSRC2:TRAP_HANDLER: 0
; COMPUTE_PGM_RSRC2:TGID_X_EN: 1
; COMPUTE_PGM_RSRC2:TGID_Y_EN: 0
; COMPUTE_PGM_RSRC2:TGID_Z_EN: 1
; COMPUTE_PGM_RSRC2:TIDIG_COMP_CNT: 0
	.section	.text._ZL19rocblas_scal_kernelIlLi256EDF16_ffPDF16_EviT3_lT4_lT_li,"axG",@progbits,_ZL19rocblas_scal_kernelIlLi256EDF16_ffPDF16_EviT3_lT4_lT_li,comdat
	.globl	_ZL19rocblas_scal_kernelIlLi256EDF16_ffPDF16_EviT3_lT4_lT_li ; -- Begin function _ZL19rocblas_scal_kernelIlLi256EDF16_ffPDF16_EviT3_lT4_lT_li
	.p2align	8
	.type	_ZL19rocblas_scal_kernelIlLi256EDF16_ffPDF16_EviT3_lT4_lT_li,@function
_ZL19rocblas_scal_kernelIlLi256EDF16_ffPDF16_EviT3_lT4_lT_li: ; @_ZL19rocblas_scal_kernelIlLi256EDF16_ffPDF16_EviT3_lT4_lT_li
; %bb.0:
	s_load_dwordx2 s[0:1], s[4:5], 0x0
	v_lshl_or_b32 v0, s6, 8, v0
	s_waitcnt lgkmcnt(0)
	v_cmp_neq_f32_e64 s[2:3], s1, 1.0
	v_cmp_gt_u32_e32 vcc, s0, v0
	s_and_b64 s[2:3], vcc, s[2:3]
	s_and_saveexec_b64 s[8:9], s[2:3]
	s_cbranch_execz .LBB87_2
; %bb.1:
	s_load_dwordx8 s[8:15], s[4:5], 0x10
	s_waitcnt lgkmcnt(0)
	s_mul_i32 s0, s15, s7
	s_mul_hi_u32 s3, s14, s7
	v_mad_u64_u32 v[1:2], s[4:5], s12, v0, 0
	s_mul_i32 s2, s14, s7
	s_add_i32 s3, s3, s0
	s_lshl_b64 s[2:3], s[2:3], 1
	s_add_u32 s0, s8, s2
	s_addc_u32 s4, s9, s3
	v_mad_u64_u32 v[2:3], s[2:3], s13, v0, v[2:3]
	s_lshl_b64 s[2:3], s[10:11], 1
	s_add_u32 s0, s0, s2
	v_lshlrev_b64 v[0:1], 1, v[1:2]
	s_addc_u32 s2, s4, s3
	v_mov_b32_e32 v2, s2
	v_add_co_u32_e32 v0, vcc, s0, v0
	v_addc_co_u32_e32 v1, vcc, v2, v1, vcc
	global_load_ushort v2, v[0:1], off
	s_waitcnt vmcnt(0)
	v_fma_mixlo_f16 v2, s1, v2, 0 op_sel_hi:[0,1,0]
	global_store_short v[0:1], v2, off
.LBB87_2:
	s_endpgm
	.section	.rodata,"a",@progbits
	.p2align	6, 0x0
	.amdhsa_kernel _ZL19rocblas_scal_kernelIlLi256EDF16_ffPDF16_EviT3_lT4_lT_li
		.amdhsa_group_segment_fixed_size 0
		.amdhsa_private_segment_fixed_size 0
		.amdhsa_kernarg_size 52
		.amdhsa_user_sgpr_count 6
		.amdhsa_user_sgpr_private_segment_buffer 1
		.amdhsa_user_sgpr_dispatch_ptr 0
		.amdhsa_user_sgpr_queue_ptr 0
		.amdhsa_user_sgpr_kernarg_segment_ptr 1
		.amdhsa_user_sgpr_dispatch_id 0
		.amdhsa_user_sgpr_flat_scratch_init 0
		.amdhsa_user_sgpr_private_segment_size 0
		.amdhsa_uses_dynamic_stack 0
		.amdhsa_system_sgpr_private_segment_wavefront_offset 0
		.amdhsa_system_sgpr_workgroup_id_x 1
		.amdhsa_system_sgpr_workgroup_id_y 0
		.amdhsa_system_sgpr_workgroup_id_z 1
		.amdhsa_system_sgpr_workgroup_info 0
		.amdhsa_system_vgpr_workitem_id 0
		.amdhsa_next_free_vgpr 4
		.amdhsa_next_free_sgpr 16
		.amdhsa_reserve_vcc 1
		.amdhsa_reserve_flat_scratch 0
		.amdhsa_float_round_mode_32 0
		.amdhsa_float_round_mode_16_64 0
		.amdhsa_float_denorm_mode_32 3
		.amdhsa_float_denorm_mode_16_64 3
		.amdhsa_dx10_clamp 1
		.amdhsa_ieee_mode 1
		.amdhsa_fp16_overflow 0
		.amdhsa_exception_fp_ieee_invalid_op 0
		.amdhsa_exception_fp_denorm_src 0
		.amdhsa_exception_fp_ieee_div_zero 0
		.amdhsa_exception_fp_ieee_overflow 0
		.amdhsa_exception_fp_ieee_underflow 0
		.amdhsa_exception_fp_ieee_inexact 0
		.amdhsa_exception_int_div_zero 0
	.end_amdhsa_kernel
	.section	.text._ZL19rocblas_scal_kernelIlLi256EDF16_ffPDF16_EviT3_lT4_lT_li,"axG",@progbits,_ZL19rocblas_scal_kernelIlLi256EDF16_ffPDF16_EviT3_lT4_lT_li,comdat
.Lfunc_end87:
	.size	_ZL19rocblas_scal_kernelIlLi256EDF16_ffPDF16_EviT3_lT4_lT_li, .Lfunc_end87-_ZL19rocblas_scal_kernelIlLi256EDF16_ffPDF16_EviT3_lT4_lT_li
                                        ; -- End function
	.set _ZL19rocblas_scal_kernelIlLi256EDF16_ffPDF16_EviT3_lT4_lT_li.num_vgpr, 4
	.set _ZL19rocblas_scal_kernelIlLi256EDF16_ffPDF16_EviT3_lT4_lT_li.num_agpr, 0
	.set _ZL19rocblas_scal_kernelIlLi256EDF16_ffPDF16_EviT3_lT4_lT_li.numbered_sgpr, 16
	.set _ZL19rocblas_scal_kernelIlLi256EDF16_ffPDF16_EviT3_lT4_lT_li.num_named_barrier, 0
	.set _ZL19rocblas_scal_kernelIlLi256EDF16_ffPDF16_EviT3_lT4_lT_li.private_seg_size, 0
	.set _ZL19rocblas_scal_kernelIlLi256EDF16_ffPDF16_EviT3_lT4_lT_li.uses_vcc, 1
	.set _ZL19rocblas_scal_kernelIlLi256EDF16_ffPDF16_EviT3_lT4_lT_li.uses_flat_scratch, 0
	.set _ZL19rocblas_scal_kernelIlLi256EDF16_ffPDF16_EviT3_lT4_lT_li.has_dyn_sized_stack, 0
	.set _ZL19rocblas_scal_kernelIlLi256EDF16_ffPDF16_EviT3_lT4_lT_li.has_recursion, 0
	.set _ZL19rocblas_scal_kernelIlLi256EDF16_ffPDF16_EviT3_lT4_lT_li.has_indirect_call, 0
	.section	.AMDGPU.csdata,"",@progbits
; Kernel info:
; codeLenInByte = 164
; TotalNumSgprs: 20
; NumVgprs: 4
; ScratchSize: 0
; MemoryBound: 0
; FloatMode: 240
; IeeeMode: 1
; LDSByteSize: 0 bytes/workgroup (compile time only)
; SGPRBlocks: 2
; VGPRBlocks: 0
; NumSGPRsForWavesPerEU: 20
; NumVGPRsForWavesPerEU: 4
; Occupancy: 10
; WaveLimiterHint : 0
; COMPUTE_PGM_RSRC2:SCRATCH_EN: 0
; COMPUTE_PGM_RSRC2:USER_SGPR: 6
; COMPUTE_PGM_RSRC2:TRAP_HANDLER: 0
; COMPUTE_PGM_RSRC2:TGID_X_EN: 1
; COMPUTE_PGM_RSRC2:TGID_Y_EN: 0
; COMPUTE_PGM_RSRC2:TGID_Z_EN: 1
; COMPUTE_PGM_RSRC2:TIDIG_COMP_CNT: 0
	.section	.text._ZL22rocblas_sscal_2_kernelILi256E16rocblas_bfloat16fPKS0_PS0_EviT2_lT3_lli,"axG",@progbits,_ZL22rocblas_sscal_2_kernelILi256E16rocblas_bfloat16fPKS0_PS0_EviT2_lT3_lli,comdat
	.globl	_ZL22rocblas_sscal_2_kernelILi256E16rocblas_bfloat16fPKS0_PS0_EviT2_lT3_lli ; -- Begin function _ZL22rocblas_sscal_2_kernelILi256E16rocblas_bfloat16fPKS0_PS0_EviT2_lT3_lli
	.p2align	8
	.type	_ZL22rocblas_sscal_2_kernelILi256E16rocblas_bfloat16fPKS0_PS0_EviT2_lT3_lli,@function
_ZL22rocblas_sscal_2_kernelILi256E16rocblas_bfloat16fPKS0_PS0_EviT2_lT3_lli: ; @_ZL22rocblas_sscal_2_kernelILi256E16rocblas_bfloat16fPKS0_PS0_EviT2_lT3_lli
; %bb.0:
	s_load_dwordx4 s[0:3], s[4:5], 0x8
	v_mov_b32_e32 v1, 0
	s_waitcnt lgkmcnt(0)
	s_mul_i32 s3, s3, s7
	s_mul_hi_u32 s8, s2, s7
	s_add_i32 s3, s8, s3
	s_mul_i32 s2, s2, s7
	s_lshl_b64 s[2:3], s[2:3], 1
	s_add_u32 s0, s0, s2
	s_addc_u32 s1, s1, s3
	global_load_ushort v1, v1, s[0:1]
	s_waitcnt vmcnt(0)
	v_lshlrev_b32_e32 v3, 16, v1
	v_cmp_eq_f32_e32 vcc, 1.0, v3
	s_cbranch_vccnz .LBB88_17
; %bb.1:
	s_load_dwordx4 s[0:3], s[4:5], 0x20
	s_load_dwordx2 s[10:11], s[4:5], 0x18
	s_load_dword s8, s[4:5], 0x0
	v_lshlrev_b32_e32 v0, 1, v0
	v_lshl_or_b32 v0, s6, 9, v0
	s_waitcnt lgkmcnt(0)
	s_mul_i32 s3, s3, s7
	s_mul_hi_u32 s4, s2, s7
	s_add_i32 s3, s4, s3
	s_mul_i32 s2, s2, s7
	s_lshl_b64 s[2:3], s[2:3], 1
	s_add_u32 s2, s10, s2
	s_addc_u32 s3, s11, s3
	s_lshl_b64 s[0:1], s[0:1], 1
	s_add_u32 s4, s2, s0
	v_or_b32_e32 v1, 1, v0
	s_addc_u32 s5, s3, s1
	v_cmp_gt_u32_e32 vcc, s8, v1
	s_and_saveexec_b64 s[0:1], vcc
	s_cbranch_execz .LBB88_11
; %bb.2:
	v_mov_b32_e32 v1, 0
	v_lshlrev_b64 v[1:2], 1, v[0:1]
	v_mov_b32_e32 v4, s5
	v_add_co_u32_e32 v1, vcc, s4, v1
	v_addc_co_u32_e32 v2, vcc, v4, v2, vcc
	global_load_ushort v4, v[1:2], off
	s_mov_b32 s2, 0x7f800000
	s_waitcnt vmcnt(0)
	v_lshlrev_b32_e32 v4, 16, v4
	v_mul_f32_e32 v4, v3, v4
	v_and_b32_e32 v5, 0x7f800000, v4
	v_cmp_ne_u32_e32 vcc, s2, v5
                                        ; implicit-def: $vgpr5
	s_and_saveexec_b64 s[2:3], vcc
	s_xor_b64 s[2:3], exec, s[2:3]
; %bb.3:
	v_bfe_u32 v5, v4, 16, 1
	s_movk_i32 s6, 0x7fff
	v_add3_u32 v5, v4, v5, s6
                                        ; implicit-def: $vgpr4
; %bb.4:
	s_andn2_saveexec_b64 s[2:3], s[2:3]
; %bb.5:
	v_mov_b32_e32 v5, 0
	v_or_b32_e32 v6, 0x10000, v4
	v_cmp_eq_u32_sdwa vcc, v4, v5 src0_sel:WORD_0 src1_sel:DWORD
	v_cndmask_b32_e32 v5, v6, v4, vcc
; %bb.6:
	s_or_b64 exec, exec, s[2:3]
	global_load_ushort v4, v[1:2], off offset:2
	s_mov_b32 s2, 0x7f800000
	global_store_short_d16_hi v[1:2], v5, off
	s_waitcnt vmcnt(1)
	v_lshlrev_b32_e32 v4, 16, v4
	v_mul_f32_e32 v4, v3, v4
	v_and_b32_e32 v5, 0x7f800000, v4
	v_cmp_ne_u32_e32 vcc, s2, v5
                                        ; implicit-def: $vgpr5
	s_and_saveexec_b64 s[2:3], vcc
	s_xor_b64 s[2:3], exec, s[2:3]
; %bb.7:
	v_bfe_u32 v5, v4, 16, 1
	s_movk_i32 s6, 0x7fff
	v_add3_u32 v5, v4, v5, s6
                                        ; implicit-def: $vgpr4
; %bb.8:
	s_andn2_saveexec_b64 s[2:3], s[2:3]
; %bb.9:
	v_mov_b32_e32 v5, 0
	v_or_b32_e32 v6, 0x10000, v4
	v_cmp_eq_u32_sdwa vcc, v4, v5 src0_sel:WORD_0 src1_sel:DWORD
	v_cndmask_b32_e32 v5, v6, v4, vcc
; %bb.10:
	s_or_b64 exec, exec, s[2:3]
	global_store_short_d16_hi v[1:2], v5, off offset:2
.LBB88_11:
	s_or_b64 exec, exec, s[0:1]
	s_bitcmp1_b32 s8, 0
	s_cselect_b64 s[0:1], -1, 0
	s_add_i32 s8, s8, -1
	v_cmp_eq_u32_e32 vcc, s8, v0
	s_and_b64 s[0:1], s[0:1], vcc
	s_and_saveexec_b64 s[2:3], s[0:1]
	s_cbranch_execz .LBB88_17
; %bb.12:
	v_mov_b32_e32 v1, 0
	v_lshlrev_b64 v[0:1], 1, v[0:1]
	v_mov_b32_e32 v2, s5
	v_add_co_u32_e32 v0, vcc, s4, v0
	v_addc_co_u32_e32 v1, vcc, v2, v1, vcc
	global_load_ushort v2, v[0:1], off
	s_mov_b32 s0, 0x7f800000
	s_waitcnt vmcnt(0)
	v_lshlrev_b32_e32 v2, 16, v2
	v_mul_f32_e32 v2, v3, v2
	v_and_b32_e32 v3, 0x7f800000, v2
	v_cmp_ne_u32_e32 vcc, s0, v3
                                        ; implicit-def: $vgpr3
	s_and_saveexec_b64 s[0:1], vcc
	s_xor_b64 s[0:1], exec, s[0:1]
; %bb.13:
	v_bfe_u32 v3, v2, 16, 1
	s_movk_i32 s2, 0x7fff
	v_add3_u32 v3, v2, v3, s2
                                        ; implicit-def: $vgpr2
; %bb.14:
	s_andn2_saveexec_b64 s[0:1], s[0:1]
; %bb.15:
	v_mov_b32_e32 v3, 0
	v_or_b32_e32 v4, 0x10000, v2
	v_cmp_eq_u32_sdwa vcc, v2, v3 src0_sel:WORD_0 src1_sel:DWORD
	v_cndmask_b32_e32 v3, v4, v2, vcc
; %bb.16:
	s_or_b64 exec, exec, s[0:1]
	global_store_short_d16_hi v[0:1], v3, off
.LBB88_17:
	s_endpgm
	.section	.rodata,"a",@progbits
	.p2align	6, 0x0
	.amdhsa_kernel _ZL22rocblas_sscal_2_kernelILi256E16rocblas_bfloat16fPKS0_PS0_EviT2_lT3_lli
		.amdhsa_group_segment_fixed_size 0
		.amdhsa_private_segment_fixed_size 0
		.amdhsa_kernarg_size 52
		.amdhsa_user_sgpr_count 6
		.amdhsa_user_sgpr_private_segment_buffer 1
		.amdhsa_user_sgpr_dispatch_ptr 0
		.amdhsa_user_sgpr_queue_ptr 0
		.amdhsa_user_sgpr_kernarg_segment_ptr 1
		.amdhsa_user_sgpr_dispatch_id 0
		.amdhsa_user_sgpr_flat_scratch_init 0
		.amdhsa_user_sgpr_private_segment_size 0
		.amdhsa_uses_dynamic_stack 0
		.amdhsa_system_sgpr_private_segment_wavefront_offset 0
		.amdhsa_system_sgpr_workgroup_id_x 1
		.amdhsa_system_sgpr_workgroup_id_y 0
		.amdhsa_system_sgpr_workgroup_id_z 1
		.amdhsa_system_sgpr_workgroup_info 0
		.amdhsa_system_vgpr_workitem_id 0
		.amdhsa_next_free_vgpr 7
		.amdhsa_next_free_sgpr 12
		.amdhsa_reserve_vcc 1
		.amdhsa_reserve_flat_scratch 0
		.amdhsa_float_round_mode_32 0
		.amdhsa_float_round_mode_16_64 0
		.amdhsa_float_denorm_mode_32 3
		.amdhsa_float_denorm_mode_16_64 3
		.amdhsa_dx10_clamp 1
		.amdhsa_ieee_mode 1
		.amdhsa_fp16_overflow 0
		.amdhsa_exception_fp_ieee_invalid_op 0
		.amdhsa_exception_fp_denorm_src 0
		.amdhsa_exception_fp_ieee_div_zero 0
		.amdhsa_exception_fp_ieee_overflow 0
		.amdhsa_exception_fp_ieee_underflow 0
		.amdhsa_exception_fp_ieee_inexact 0
		.amdhsa_exception_int_div_zero 0
	.end_amdhsa_kernel
	.section	.text._ZL22rocblas_sscal_2_kernelILi256E16rocblas_bfloat16fPKS0_PS0_EviT2_lT3_lli,"axG",@progbits,_ZL22rocblas_sscal_2_kernelILi256E16rocblas_bfloat16fPKS0_PS0_EviT2_lT3_lli,comdat
.Lfunc_end88:
	.size	_ZL22rocblas_sscal_2_kernelILi256E16rocblas_bfloat16fPKS0_PS0_EviT2_lT3_lli, .Lfunc_end88-_ZL22rocblas_sscal_2_kernelILi256E16rocblas_bfloat16fPKS0_PS0_EviT2_lT3_lli
                                        ; -- End function
	.set _ZL22rocblas_sscal_2_kernelILi256E16rocblas_bfloat16fPKS0_PS0_EviT2_lT3_lli.num_vgpr, 7
	.set _ZL22rocblas_sscal_2_kernelILi256E16rocblas_bfloat16fPKS0_PS0_EviT2_lT3_lli.num_agpr, 0
	.set _ZL22rocblas_sscal_2_kernelILi256E16rocblas_bfloat16fPKS0_PS0_EviT2_lT3_lli.numbered_sgpr, 12
	.set _ZL22rocblas_sscal_2_kernelILi256E16rocblas_bfloat16fPKS0_PS0_EviT2_lT3_lli.num_named_barrier, 0
	.set _ZL22rocblas_sscal_2_kernelILi256E16rocblas_bfloat16fPKS0_PS0_EviT2_lT3_lli.private_seg_size, 0
	.set _ZL22rocblas_sscal_2_kernelILi256E16rocblas_bfloat16fPKS0_PS0_EviT2_lT3_lli.uses_vcc, 1
	.set _ZL22rocblas_sscal_2_kernelILi256E16rocblas_bfloat16fPKS0_PS0_EviT2_lT3_lli.uses_flat_scratch, 0
	.set _ZL22rocblas_sscal_2_kernelILi256E16rocblas_bfloat16fPKS0_PS0_EviT2_lT3_lli.has_dyn_sized_stack, 0
	.set _ZL22rocblas_sscal_2_kernelILi256E16rocblas_bfloat16fPKS0_PS0_EviT2_lT3_lli.has_recursion, 0
	.set _ZL22rocblas_sscal_2_kernelILi256E16rocblas_bfloat16fPKS0_PS0_EviT2_lT3_lli.has_indirect_call, 0
	.section	.AMDGPU.csdata,"",@progbits
; Kernel info:
; codeLenInByte = 572
; TotalNumSgprs: 16
; NumVgprs: 7
; ScratchSize: 0
; MemoryBound: 0
; FloatMode: 240
; IeeeMode: 1
; LDSByteSize: 0 bytes/workgroup (compile time only)
; SGPRBlocks: 1
; VGPRBlocks: 1
; NumSGPRsForWavesPerEU: 16
; NumVGPRsForWavesPerEU: 7
; Occupancy: 10
; WaveLimiterHint : 0
; COMPUTE_PGM_RSRC2:SCRATCH_EN: 0
; COMPUTE_PGM_RSRC2:USER_SGPR: 6
; COMPUTE_PGM_RSRC2:TRAP_HANDLER: 0
; COMPUTE_PGM_RSRC2:TGID_X_EN: 1
; COMPUTE_PGM_RSRC2:TGID_Y_EN: 0
; COMPUTE_PGM_RSRC2:TGID_Z_EN: 1
; COMPUTE_PGM_RSRC2:TIDIG_COMP_CNT: 0
	.section	.text._ZL22rocblas_sscal_2_kernelILi256E16rocblas_bfloat16fS0_PS0_EviT2_lT3_lli,"axG",@progbits,_ZL22rocblas_sscal_2_kernelILi256E16rocblas_bfloat16fS0_PS0_EviT2_lT3_lli,comdat
	.globl	_ZL22rocblas_sscal_2_kernelILi256E16rocblas_bfloat16fS0_PS0_EviT2_lT3_lli ; -- Begin function _ZL22rocblas_sscal_2_kernelILi256E16rocblas_bfloat16fS0_PS0_EviT2_lT3_lli
	.p2align	8
	.type	_ZL22rocblas_sscal_2_kernelILi256E16rocblas_bfloat16fS0_PS0_EviT2_lT3_lli,@function
_ZL22rocblas_sscal_2_kernelILi256E16rocblas_bfloat16fS0_PS0_EviT2_lT3_lli: ; @_ZL22rocblas_sscal_2_kernelILi256E16rocblas_bfloat16fS0_PS0_EviT2_lT3_lli
; %bb.0:
	s_load_dwordx2 s[0:1], s[4:5], 0x0
	s_waitcnt lgkmcnt(0)
	s_lshl_b32 s1, s1, 16
	v_cmp_eq_f32_e64 s[2:3], s1, 1.0
	s_and_b64 vcc, exec, s[2:3]
	s_cbranch_vccnz .LBB89_17
; %bb.1:
	s_load_dwordx4 s[8:11], s[4:5], 0x18
	s_load_dwordx2 s[2:3], s[4:5], 0x10
	v_lshlrev_b32_e32 v0, 1, v0
	v_lshl_or_b32 v0, s6, 9, v0
	v_or_b32_e32 v1, 1, v0
	s_waitcnt lgkmcnt(0)
	s_mul_i32 s4, s11, s7
	s_mul_hi_u32 s5, s10, s7
	s_add_i32 s5, s5, s4
	s_mul_i32 s4, s10, s7
	s_lshl_b64 s[4:5], s[4:5], 1
	s_add_u32 s4, s2, s4
	s_addc_u32 s5, s3, s5
	s_lshl_b64 s[2:3], s[8:9], 1
	s_add_u32 s6, s4, s2
	s_addc_u32 s7, s5, s3
	v_cmp_gt_u32_e32 vcc, s0, v1
	s_and_saveexec_b64 s[2:3], vcc
	s_cbranch_execz .LBB89_11
; %bb.2:
	v_mov_b32_e32 v1, 0
	v_lshlrev_b64 v[1:2], 1, v[0:1]
	v_mov_b32_e32 v3, s7
	v_add_co_u32_e32 v1, vcc, s6, v1
	v_addc_co_u32_e32 v2, vcc, v3, v2, vcc
	global_load_ushort v3, v[1:2], off
	s_mov_b32 s4, 0x7f800000
	s_waitcnt vmcnt(0)
	v_lshlrev_b32_e32 v3, 16, v3
	v_mul_f32_e32 v3, s1, v3
	v_and_b32_e32 v4, 0x7f800000, v3
	v_cmp_ne_u32_e32 vcc, s4, v4
                                        ; implicit-def: $vgpr4
	s_and_saveexec_b64 s[4:5], vcc
	s_xor_b64 s[4:5], exec, s[4:5]
; %bb.3:
	v_bfe_u32 v4, v3, 16, 1
	s_movk_i32 s8, 0x7fff
	v_add3_u32 v4, v3, v4, s8
                                        ; implicit-def: $vgpr3
; %bb.4:
	s_andn2_saveexec_b64 s[4:5], s[4:5]
; %bb.5:
	v_mov_b32_e32 v4, 0
	v_or_b32_e32 v5, 0x10000, v3
	v_cmp_eq_u32_sdwa vcc, v3, v4 src0_sel:WORD_0 src1_sel:DWORD
	v_cndmask_b32_e32 v4, v5, v3, vcc
; %bb.6:
	s_or_b64 exec, exec, s[4:5]
	global_load_ushort v3, v[1:2], off offset:2
	s_mov_b32 s4, 0x7f800000
	global_store_short_d16_hi v[1:2], v4, off
	s_waitcnt vmcnt(1)
	v_lshlrev_b32_e32 v3, 16, v3
	v_mul_f32_e32 v3, s1, v3
	v_and_b32_e32 v4, 0x7f800000, v3
	v_cmp_ne_u32_e32 vcc, s4, v4
                                        ; implicit-def: $vgpr4
	s_and_saveexec_b64 s[4:5], vcc
	s_xor_b64 s[4:5], exec, s[4:5]
; %bb.7:
	v_bfe_u32 v4, v3, 16, 1
	s_movk_i32 s8, 0x7fff
	v_add3_u32 v4, v3, v4, s8
                                        ; implicit-def: $vgpr3
; %bb.8:
	s_andn2_saveexec_b64 s[4:5], s[4:5]
; %bb.9:
	v_mov_b32_e32 v4, 0
	v_or_b32_e32 v5, 0x10000, v3
	v_cmp_eq_u32_sdwa vcc, v3, v4 src0_sel:WORD_0 src1_sel:DWORD
	v_cndmask_b32_e32 v4, v5, v3, vcc
; %bb.10:
	s_or_b64 exec, exec, s[4:5]
	global_store_short_d16_hi v[1:2], v4, off offset:2
.LBB89_11:
	s_or_b64 exec, exec, s[2:3]
	s_bitcmp1_b32 s0, 0
	s_cselect_b64 s[2:3], -1, 0
	s_add_i32 s0, s0, -1
	v_cmp_eq_u32_e32 vcc, s0, v0
	s_and_b64 s[2:3], s[2:3], vcc
	s_and_saveexec_b64 s[4:5], s[2:3]
	s_cbranch_execz .LBB89_17
; %bb.12:
	v_mov_b32_e32 v1, 0
	v_lshlrev_b64 v[0:1], 1, v[0:1]
	v_mov_b32_e32 v2, s7
	v_add_co_u32_e32 v0, vcc, s6, v0
	v_addc_co_u32_e32 v1, vcc, v2, v1, vcc
	global_load_ushort v2, v[0:1], off
	s_mov_b32 s0, 0x7f800000
	s_waitcnt vmcnt(0)
	v_lshlrev_b32_e32 v2, 16, v2
	v_mul_f32_e32 v2, s1, v2
	v_and_b32_e32 v3, 0x7f800000, v2
	v_cmp_ne_u32_e32 vcc, s0, v3
                                        ; implicit-def: $vgpr3
	s_and_saveexec_b64 s[0:1], vcc
	s_xor_b64 s[0:1], exec, s[0:1]
; %bb.13:
	v_bfe_u32 v3, v2, 16, 1
	s_movk_i32 s2, 0x7fff
	v_add3_u32 v3, v2, v3, s2
                                        ; implicit-def: $vgpr2
; %bb.14:
	s_andn2_saveexec_b64 s[0:1], s[0:1]
; %bb.15:
	v_mov_b32_e32 v3, 0
	v_or_b32_e32 v4, 0x10000, v2
	v_cmp_eq_u32_sdwa vcc, v2, v3 src0_sel:WORD_0 src1_sel:DWORD
	v_cndmask_b32_e32 v3, v4, v2, vcc
; %bb.16:
	s_or_b64 exec, exec, s[0:1]
	global_store_short_d16_hi v[0:1], v3, off
.LBB89_17:
	s_endpgm
	.section	.rodata,"a",@progbits
	.p2align	6, 0x0
	.amdhsa_kernel _ZL22rocblas_sscal_2_kernelILi256E16rocblas_bfloat16fS0_PS0_EviT2_lT3_lli
		.amdhsa_group_segment_fixed_size 0
		.amdhsa_private_segment_fixed_size 0
		.amdhsa_kernarg_size 44
		.amdhsa_user_sgpr_count 6
		.amdhsa_user_sgpr_private_segment_buffer 1
		.amdhsa_user_sgpr_dispatch_ptr 0
		.amdhsa_user_sgpr_queue_ptr 0
		.amdhsa_user_sgpr_kernarg_segment_ptr 1
		.amdhsa_user_sgpr_dispatch_id 0
		.amdhsa_user_sgpr_flat_scratch_init 0
		.amdhsa_user_sgpr_private_segment_size 0
		.amdhsa_uses_dynamic_stack 0
		.amdhsa_system_sgpr_private_segment_wavefront_offset 0
		.amdhsa_system_sgpr_workgroup_id_x 1
		.amdhsa_system_sgpr_workgroup_id_y 0
		.amdhsa_system_sgpr_workgroup_id_z 1
		.amdhsa_system_sgpr_workgroup_info 0
		.amdhsa_system_vgpr_workitem_id 0
		.amdhsa_next_free_vgpr 6
		.amdhsa_next_free_sgpr 12
		.amdhsa_reserve_vcc 1
		.amdhsa_reserve_flat_scratch 0
		.amdhsa_float_round_mode_32 0
		.amdhsa_float_round_mode_16_64 0
		.amdhsa_float_denorm_mode_32 3
		.amdhsa_float_denorm_mode_16_64 3
		.amdhsa_dx10_clamp 1
		.amdhsa_ieee_mode 1
		.amdhsa_fp16_overflow 0
		.amdhsa_exception_fp_ieee_invalid_op 0
		.amdhsa_exception_fp_denorm_src 0
		.amdhsa_exception_fp_ieee_div_zero 0
		.amdhsa_exception_fp_ieee_overflow 0
		.amdhsa_exception_fp_ieee_underflow 0
		.amdhsa_exception_fp_ieee_inexact 0
		.amdhsa_exception_int_div_zero 0
	.end_amdhsa_kernel
	.section	.text._ZL22rocblas_sscal_2_kernelILi256E16rocblas_bfloat16fS0_PS0_EviT2_lT3_lli,"axG",@progbits,_ZL22rocblas_sscal_2_kernelILi256E16rocblas_bfloat16fS0_PS0_EviT2_lT3_lli,comdat
.Lfunc_end89:
	.size	_ZL22rocblas_sscal_2_kernelILi256E16rocblas_bfloat16fS0_PS0_EviT2_lT3_lli, .Lfunc_end89-_ZL22rocblas_sscal_2_kernelILi256E16rocblas_bfloat16fS0_PS0_EviT2_lT3_lli
                                        ; -- End function
	.set _ZL22rocblas_sscal_2_kernelILi256E16rocblas_bfloat16fS0_PS0_EviT2_lT3_lli.num_vgpr, 6
	.set _ZL22rocblas_sscal_2_kernelILi256E16rocblas_bfloat16fS0_PS0_EviT2_lT3_lli.num_agpr, 0
	.set _ZL22rocblas_sscal_2_kernelILi256E16rocblas_bfloat16fS0_PS0_EviT2_lT3_lli.numbered_sgpr, 12
	.set _ZL22rocblas_sscal_2_kernelILi256E16rocblas_bfloat16fS0_PS0_EviT2_lT3_lli.num_named_barrier, 0
	.set _ZL22rocblas_sscal_2_kernelILi256E16rocblas_bfloat16fS0_PS0_EviT2_lT3_lli.private_seg_size, 0
	.set _ZL22rocblas_sscal_2_kernelILi256E16rocblas_bfloat16fS0_PS0_EviT2_lT3_lli.uses_vcc, 1
	.set _ZL22rocblas_sscal_2_kernelILi256E16rocblas_bfloat16fS0_PS0_EviT2_lT3_lli.uses_flat_scratch, 0
	.set _ZL22rocblas_sscal_2_kernelILi256E16rocblas_bfloat16fS0_PS0_EviT2_lT3_lli.has_dyn_sized_stack, 0
	.set _ZL22rocblas_sscal_2_kernelILi256E16rocblas_bfloat16fS0_PS0_EviT2_lT3_lli.has_recursion, 0
	.set _ZL22rocblas_sscal_2_kernelILi256E16rocblas_bfloat16fS0_PS0_EviT2_lT3_lli.has_indirect_call, 0
	.section	.AMDGPU.csdata,"",@progbits
; Kernel info:
; codeLenInByte = 528
; TotalNumSgprs: 16
; NumVgprs: 6
; ScratchSize: 0
; MemoryBound: 0
; FloatMode: 240
; IeeeMode: 1
; LDSByteSize: 0 bytes/workgroup (compile time only)
; SGPRBlocks: 1
; VGPRBlocks: 1
; NumSGPRsForWavesPerEU: 16
; NumVGPRsForWavesPerEU: 6
; Occupancy: 10
; WaveLimiterHint : 0
; COMPUTE_PGM_RSRC2:SCRATCH_EN: 0
; COMPUTE_PGM_RSRC2:USER_SGPR: 6
; COMPUTE_PGM_RSRC2:TRAP_HANDLER: 0
; COMPUTE_PGM_RSRC2:TGID_X_EN: 1
; COMPUTE_PGM_RSRC2:TGID_Y_EN: 0
; COMPUTE_PGM_RSRC2:TGID_Z_EN: 1
; COMPUTE_PGM_RSRC2:TIDIG_COMP_CNT: 0
	.section	.text._ZL19rocblas_scal_kernelIiLi256E16rocblas_bfloat16fPKS0_PS0_EviT3_lT4_lT_li,"axG",@progbits,_ZL19rocblas_scal_kernelIiLi256E16rocblas_bfloat16fPKS0_PS0_EviT3_lT4_lT_li,comdat
	.globl	_ZL19rocblas_scal_kernelIiLi256E16rocblas_bfloat16fPKS0_PS0_EviT3_lT4_lT_li ; -- Begin function _ZL19rocblas_scal_kernelIiLi256E16rocblas_bfloat16fPKS0_PS0_EviT3_lT4_lT_li
	.p2align	8
	.type	_ZL19rocblas_scal_kernelIiLi256E16rocblas_bfloat16fPKS0_PS0_EviT3_lT4_lT_li,@function
_ZL19rocblas_scal_kernelIiLi256E16rocblas_bfloat16fPKS0_PS0_EviT3_lT4_lT_li: ; @_ZL19rocblas_scal_kernelIiLi256E16rocblas_bfloat16fPKS0_PS0_EviT3_lT4_lT_li
; %bb.0:
	s_load_dwordx8 s[8:15], s[4:5], 0x8
	v_mov_b32_e32 v1, 0
	v_lshl_or_b32 v0, s6, 8, v0
	s_waitcnt lgkmcnt(0)
	s_mul_i32 s0, s11, s7
	s_mul_hi_u32 s1, s10, s7
	s_add_i32 s1, s1, s0
	s_mul_i32 s0, s10, s7
	s_lshl_b64 s[0:1], s[0:1], 1
	s_add_u32 s0, s8, s0
	s_addc_u32 s1, s9, s1
	global_load_ushort v1, v1, s[0:1]
	s_load_dword s0, s[4:5], 0x0
	s_waitcnt lgkmcnt(0)
	v_cmp_gt_u32_e64 s[0:1], s0, v0
	s_waitcnt vmcnt(0)
	v_lshlrev_b32_e32 v2, 16, v1
	v_cmp_neq_f32_e32 vcc, 1.0, v2
	s_and_b64 s[0:1], s[0:1], vcc
	s_and_saveexec_b64 s[2:3], s[0:1]
	s_cbranch_execz .LBB90_6
; %bb.1:
	s_load_dword s2, s[4:5], 0x28
	s_load_dwordx2 s[0:1], s[4:5], 0x30
	s_waitcnt lgkmcnt(0)
	s_ashr_i32 s4, s2, 31
	s_mul_i32 s1, s1, s7
	s_mul_hi_u32 s3, s0, s7
	s_add_i32 s1, s3, s1
	v_mad_u64_u32 v[3:4], s[2:3], s2, v0, 0
	s_mul_i32 s0, s0, s7
	s_lshl_b64 s[0:1], s[0:1], 1
	s_add_u32 s2, s12, s0
	v_mov_b32_e32 v1, v4
	s_addc_u32 s3, s13, s1
	v_mad_u64_u32 v[0:1], s[0:1], s4, v0, v[1:2]
	s_lshl_b64 s[0:1], s[14:15], 1
	s_add_u32 s0, s2, s0
	v_mov_b32_e32 v4, v0
	v_lshlrev_b64 v[0:1], 1, v[3:4]
	s_addc_u32 s1, s3, s1
	v_mov_b32_e32 v3, s1
	v_add_co_u32_e32 v0, vcc, s0, v0
	v_addc_co_u32_e32 v1, vcc, v3, v1, vcc
	global_load_ushort v3, v[0:1], off
	s_mov_b32 s0, 0x7f800000
	s_waitcnt vmcnt(0)
	v_lshlrev_b32_e32 v3, 16, v3
	v_mul_f32_e32 v2, v2, v3
	v_and_b32_e32 v3, 0x7f800000, v2
	v_cmp_ne_u32_e32 vcc, s0, v3
                                        ; implicit-def: $vgpr3
	s_and_saveexec_b64 s[0:1], vcc
	s_xor_b64 s[0:1], exec, s[0:1]
; %bb.2:
	v_bfe_u32 v3, v2, 16, 1
	s_movk_i32 s2, 0x7fff
	v_add3_u32 v3, v2, v3, s2
                                        ; implicit-def: $vgpr2
; %bb.3:
	s_andn2_saveexec_b64 s[0:1], s[0:1]
; %bb.4:
	v_mov_b32_e32 v3, 0
	v_or_b32_e32 v4, 0x10000, v2
	v_cmp_eq_u32_sdwa vcc, v2, v3 src0_sel:WORD_0 src1_sel:DWORD
	v_cndmask_b32_e32 v3, v4, v2, vcc
; %bb.5:
	s_or_b64 exec, exec, s[0:1]
	global_store_short_d16_hi v[0:1], v3, off
.LBB90_6:
	s_endpgm
	.section	.rodata,"a",@progbits
	.p2align	6, 0x0
	.amdhsa_kernel _ZL19rocblas_scal_kernelIiLi256E16rocblas_bfloat16fPKS0_PS0_EviT3_lT4_lT_li
		.amdhsa_group_segment_fixed_size 0
		.amdhsa_private_segment_fixed_size 0
		.amdhsa_kernarg_size 60
		.amdhsa_user_sgpr_count 6
		.amdhsa_user_sgpr_private_segment_buffer 1
		.amdhsa_user_sgpr_dispatch_ptr 0
		.amdhsa_user_sgpr_queue_ptr 0
		.amdhsa_user_sgpr_kernarg_segment_ptr 1
		.amdhsa_user_sgpr_dispatch_id 0
		.amdhsa_user_sgpr_flat_scratch_init 0
		.amdhsa_user_sgpr_private_segment_size 0
		.amdhsa_uses_dynamic_stack 0
		.amdhsa_system_sgpr_private_segment_wavefront_offset 0
		.amdhsa_system_sgpr_workgroup_id_x 1
		.amdhsa_system_sgpr_workgroup_id_y 0
		.amdhsa_system_sgpr_workgroup_id_z 1
		.amdhsa_system_sgpr_workgroup_info 0
		.amdhsa_system_vgpr_workitem_id 0
		.amdhsa_next_free_vgpr 5
		.amdhsa_next_free_sgpr 16
		.amdhsa_reserve_vcc 1
		.amdhsa_reserve_flat_scratch 0
		.amdhsa_float_round_mode_32 0
		.amdhsa_float_round_mode_16_64 0
		.amdhsa_float_denorm_mode_32 3
		.amdhsa_float_denorm_mode_16_64 3
		.amdhsa_dx10_clamp 1
		.amdhsa_ieee_mode 1
		.amdhsa_fp16_overflow 0
		.amdhsa_exception_fp_ieee_invalid_op 0
		.amdhsa_exception_fp_denorm_src 0
		.amdhsa_exception_fp_ieee_div_zero 0
		.amdhsa_exception_fp_ieee_overflow 0
		.amdhsa_exception_fp_ieee_underflow 0
		.amdhsa_exception_fp_ieee_inexact 0
		.amdhsa_exception_int_div_zero 0
	.end_amdhsa_kernel
	.section	.text._ZL19rocblas_scal_kernelIiLi256E16rocblas_bfloat16fPKS0_PS0_EviT3_lT4_lT_li,"axG",@progbits,_ZL19rocblas_scal_kernelIiLi256E16rocblas_bfloat16fPKS0_PS0_EviT3_lT4_lT_li,comdat
.Lfunc_end90:
	.size	_ZL19rocblas_scal_kernelIiLi256E16rocblas_bfloat16fPKS0_PS0_EviT3_lT4_lT_li, .Lfunc_end90-_ZL19rocblas_scal_kernelIiLi256E16rocblas_bfloat16fPKS0_PS0_EviT3_lT4_lT_li
                                        ; -- End function
	.set _ZL19rocblas_scal_kernelIiLi256E16rocblas_bfloat16fPKS0_PS0_EviT3_lT4_lT_li.num_vgpr, 5
	.set _ZL19rocblas_scal_kernelIiLi256E16rocblas_bfloat16fPKS0_PS0_EviT3_lT4_lT_li.num_agpr, 0
	.set _ZL19rocblas_scal_kernelIiLi256E16rocblas_bfloat16fPKS0_PS0_EviT3_lT4_lT_li.numbered_sgpr, 16
	.set _ZL19rocblas_scal_kernelIiLi256E16rocblas_bfloat16fPKS0_PS0_EviT3_lT4_lT_li.num_named_barrier, 0
	.set _ZL19rocblas_scal_kernelIiLi256E16rocblas_bfloat16fPKS0_PS0_EviT3_lT4_lT_li.private_seg_size, 0
	.set _ZL19rocblas_scal_kernelIiLi256E16rocblas_bfloat16fPKS0_PS0_EviT3_lT4_lT_li.uses_vcc, 1
	.set _ZL19rocblas_scal_kernelIiLi256E16rocblas_bfloat16fPKS0_PS0_EviT3_lT4_lT_li.uses_flat_scratch, 0
	.set _ZL19rocblas_scal_kernelIiLi256E16rocblas_bfloat16fPKS0_PS0_EviT3_lT4_lT_li.has_dyn_sized_stack, 0
	.set _ZL19rocblas_scal_kernelIiLi256E16rocblas_bfloat16fPKS0_PS0_EviT3_lT4_lT_li.has_recursion, 0
	.set _ZL19rocblas_scal_kernelIiLi256E16rocblas_bfloat16fPKS0_PS0_EviT3_lT4_lT_li.has_indirect_call, 0
	.section	.AMDGPU.csdata,"",@progbits
; Kernel info:
; codeLenInByte = 324
; TotalNumSgprs: 20
; NumVgprs: 5
; ScratchSize: 0
; MemoryBound: 0
; FloatMode: 240
; IeeeMode: 1
; LDSByteSize: 0 bytes/workgroup (compile time only)
; SGPRBlocks: 2
; VGPRBlocks: 1
; NumSGPRsForWavesPerEU: 20
; NumVGPRsForWavesPerEU: 5
; Occupancy: 10
; WaveLimiterHint : 0
; COMPUTE_PGM_RSRC2:SCRATCH_EN: 0
; COMPUTE_PGM_RSRC2:USER_SGPR: 6
; COMPUTE_PGM_RSRC2:TRAP_HANDLER: 0
; COMPUTE_PGM_RSRC2:TGID_X_EN: 1
; COMPUTE_PGM_RSRC2:TGID_Y_EN: 0
; COMPUTE_PGM_RSRC2:TGID_Z_EN: 1
; COMPUTE_PGM_RSRC2:TIDIG_COMP_CNT: 0
	.section	.text._ZL19rocblas_scal_kernelIiLi256E16rocblas_bfloat16fS0_PS0_EviT3_lT4_lT_li,"axG",@progbits,_ZL19rocblas_scal_kernelIiLi256E16rocblas_bfloat16fS0_PS0_EviT3_lT4_lT_li,comdat
	.globl	_ZL19rocblas_scal_kernelIiLi256E16rocblas_bfloat16fS0_PS0_EviT3_lT4_lT_li ; -- Begin function _ZL19rocblas_scal_kernelIiLi256E16rocblas_bfloat16fS0_PS0_EviT3_lT4_lT_li
	.p2align	8
	.type	_ZL19rocblas_scal_kernelIiLi256E16rocblas_bfloat16fS0_PS0_EviT3_lT4_lT_li,@function
_ZL19rocblas_scal_kernelIiLi256E16rocblas_bfloat16fS0_PS0_EviT3_lT4_lT_li: ; @_ZL19rocblas_scal_kernelIiLi256E16rocblas_bfloat16fS0_PS0_EviT3_lT4_lT_li
; %bb.0:
	s_load_dwordx2 s[2:3], s[4:5], 0x0
	v_lshl_or_b32 v0, s6, 8, v0
	s_waitcnt lgkmcnt(0)
	s_lshl_b32 s0, s3, 16
	v_cmp_neq_f32_e64 s[8:9], s0, 1.0
	v_cmp_gt_u32_e32 vcc, s2, v0
	s_and_b64 s[2:3], vcc, s[8:9]
	s_and_saveexec_b64 s[8:9], s[2:3]
	s_cbranch_execz .LBB91_6
; %bb.1:
	s_load_dword s1, s[4:5], 0x20
	s_load_dwordx2 s[2:3], s[4:5], 0x28
	s_load_dwordx4 s[8:11], s[4:5], 0x10
	s_waitcnt lgkmcnt(0)
	s_ashr_i32 s6, s1, 31
	s_mul_i32 s3, s3, s7
	s_mul_hi_u32 s4, s2, s7
	s_add_i32 s3, s4, s3
	v_mad_u64_u32 v[1:2], s[4:5], s1, v0, 0
	s_mul_i32 s2, s2, s7
	s_lshl_b64 s[2:3], s[2:3], 1
	s_add_u32 s1, s8, s2
	s_addc_u32 s4, s9, s3
	v_mad_u64_u32 v[2:3], s[2:3], s6, v0, v[2:3]
	s_lshl_b64 s[2:3], s[10:11], 1
	s_add_u32 s1, s1, s2
	v_lshlrev_b64 v[0:1], 1, v[1:2]
	s_addc_u32 s2, s4, s3
	v_mov_b32_e32 v2, s2
	v_add_co_u32_e32 v0, vcc, s1, v0
	v_addc_co_u32_e32 v1, vcc, v2, v1, vcc
	global_load_ushort v2, v[0:1], off
	s_waitcnt vmcnt(0)
	v_lshlrev_b32_e32 v2, 16, v2
	v_mul_f32_e32 v2, s0, v2
	s_mov_b32 s0, 0x7f800000
	v_and_b32_e32 v3, 0x7f800000, v2
	v_cmp_ne_u32_e32 vcc, s0, v3
                                        ; implicit-def: $vgpr3
	s_and_saveexec_b64 s[0:1], vcc
	s_xor_b64 s[0:1], exec, s[0:1]
; %bb.2:
	v_bfe_u32 v3, v2, 16, 1
	s_movk_i32 s2, 0x7fff
	v_add3_u32 v3, v2, v3, s2
                                        ; implicit-def: $vgpr2
; %bb.3:
	s_andn2_saveexec_b64 s[0:1], s[0:1]
; %bb.4:
	v_mov_b32_e32 v3, 0
	v_or_b32_e32 v4, 0x10000, v2
	v_cmp_eq_u32_sdwa vcc, v2, v3 src0_sel:WORD_0 src1_sel:DWORD
	v_cndmask_b32_e32 v3, v4, v2, vcc
; %bb.5:
	s_or_b64 exec, exec, s[0:1]
	global_store_short_d16_hi v[0:1], v3, off
.LBB91_6:
	s_endpgm
	.section	.rodata,"a",@progbits
	.p2align	6, 0x0
	.amdhsa_kernel _ZL19rocblas_scal_kernelIiLi256E16rocblas_bfloat16fS0_PS0_EviT3_lT4_lT_li
		.amdhsa_group_segment_fixed_size 0
		.amdhsa_private_segment_fixed_size 0
		.amdhsa_kernarg_size 52
		.amdhsa_user_sgpr_count 6
		.amdhsa_user_sgpr_private_segment_buffer 1
		.amdhsa_user_sgpr_dispatch_ptr 0
		.amdhsa_user_sgpr_queue_ptr 0
		.amdhsa_user_sgpr_kernarg_segment_ptr 1
		.amdhsa_user_sgpr_dispatch_id 0
		.amdhsa_user_sgpr_flat_scratch_init 0
		.amdhsa_user_sgpr_private_segment_size 0
		.amdhsa_uses_dynamic_stack 0
		.amdhsa_system_sgpr_private_segment_wavefront_offset 0
		.amdhsa_system_sgpr_workgroup_id_x 1
		.amdhsa_system_sgpr_workgroup_id_y 0
		.amdhsa_system_sgpr_workgroup_id_z 1
		.amdhsa_system_sgpr_workgroup_info 0
		.amdhsa_system_vgpr_workitem_id 0
		.amdhsa_next_free_vgpr 5
		.amdhsa_next_free_sgpr 12
		.amdhsa_reserve_vcc 1
		.amdhsa_reserve_flat_scratch 0
		.amdhsa_float_round_mode_32 0
		.amdhsa_float_round_mode_16_64 0
		.amdhsa_float_denorm_mode_32 3
		.amdhsa_float_denorm_mode_16_64 3
		.amdhsa_dx10_clamp 1
		.amdhsa_ieee_mode 1
		.amdhsa_fp16_overflow 0
		.amdhsa_exception_fp_ieee_invalid_op 0
		.amdhsa_exception_fp_denorm_src 0
		.amdhsa_exception_fp_ieee_div_zero 0
		.amdhsa_exception_fp_ieee_overflow 0
		.amdhsa_exception_fp_ieee_underflow 0
		.amdhsa_exception_fp_ieee_inexact 0
		.amdhsa_exception_int_div_zero 0
	.end_amdhsa_kernel
	.section	.text._ZL19rocblas_scal_kernelIiLi256E16rocblas_bfloat16fS0_PS0_EviT3_lT4_lT_li,"axG",@progbits,_ZL19rocblas_scal_kernelIiLi256E16rocblas_bfloat16fS0_PS0_EviT3_lT4_lT_li,comdat
.Lfunc_end91:
	.size	_ZL19rocblas_scal_kernelIiLi256E16rocblas_bfloat16fS0_PS0_EviT3_lT4_lT_li, .Lfunc_end91-_ZL19rocblas_scal_kernelIiLi256E16rocblas_bfloat16fS0_PS0_EviT3_lT4_lT_li
                                        ; -- End function
	.set _ZL19rocblas_scal_kernelIiLi256E16rocblas_bfloat16fS0_PS0_EviT3_lT4_lT_li.num_vgpr, 5
	.set _ZL19rocblas_scal_kernelIiLi256E16rocblas_bfloat16fS0_PS0_EviT3_lT4_lT_li.num_agpr, 0
	.set _ZL19rocblas_scal_kernelIiLi256E16rocblas_bfloat16fS0_PS0_EviT3_lT4_lT_li.numbered_sgpr, 12
	.set _ZL19rocblas_scal_kernelIiLi256E16rocblas_bfloat16fS0_PS0_EviT3_lT4_lT_li.num_named_barrier, 0
	.set _ZL19rocblas_scal_kernelIiLi256E16rocblas_bfloat16fS0_PS0_EviT3_lT4_lT_li.private_seg_size, 0
	.set _ZL19rocblas_scal_kernelIiLi256E16rocblas_bfloat16fS0_PS0_EviT3_lT4_lT_li.uses_vcc, 1
	.set _ZL19rocblas_scal_kernelIiLi256E16rocblas_bfloat16fS0_PS0_EviT3_lT4_lT_li.uses_flat_scratch, 0
	.set _ZL19rocblas_scal_kernelIiLi256E16rocblas_bfloat16fS0_PS0_EviT3_lT4_lT_li.has_dyn_sized_stack, 0
	.set _ZL19rocblas_scal_kernelIiLi256E16rocblas_bfloat16fS0_PS0_EviT3_lT4_lT_li.has_recursion, 0
	.set _ZL19rocblas_scal_kernelIiLi256E16rocblas_bfloat16fS0_PS0_EviT3_lT4_lT_li.has_indirect_call, 0
	.section	.AMDGPU.csdata,"",@progbits
; Kernel info:
; codeLenInByte = 268
; TotalNumSgprs: 16
; NumVgprs: 5
; ScratchSize: 0
; MemoryBound: 0
; FloatMode: 240
; IeeeMode: 1
; LDSByteSize: 0 bytes/workgroup (compile time only)
; SGPRBlocks: 1
; VGPRBlocks: 1
; NumSGPRsForWavesPerEU: 16
; NumVGPRsForWavesPerEU: 5
; Occupancy: 10
; WaveLimiterHint : 0
; COMPUTE_PGM_RSRC2:SCRATCH_EN: 0
; COMPUTE_PGM_RSRC2:USER_SGPR: 6
; COMPUTE_PGM_RSRC2:TRAP_HANDLER: 0
; COMPUTE_PGM_RSRC2:TGID_X_EN: 1
; COMPUTE_PGM_RSRC2:TGID_Y_EN: 0
; COMPUTE_PGM_RSRC2:TGID_Z_EN: 1
; COMPUTE_PGM_RSRC2:TIDIG_COMP_CNT: 0
	.section	.text._ZL19rocblas_scal_kernelIlLi256E16rocblas_bfloat16fPKS0_PS0_EviT3_lT4_lT_li,"axG",@progbits,_ZL19rocblas_scal_kernelIlLi256E16rocblas_bfloat16fPKS0_PS0_EviT3_lT4_lT_li,comdat
	.globl	_ZL19rocblas_scal_kernelIlLi256E16rocblas_bfloat16fPKS0_PS0_EviT3_lT4_lT_li ; -- Begin function _ZL19rocblas_scal_kernelIlLi256E16rocblas_bfloat16fPKS0_PS0_EviT3_lT4_lT_li
	.p2align	8
	.type	_ZL19rocblas_scal_kernelIlLi256E16rocblas_bfloat16fPKS0_PS0_EviT3_lT4_lT_li,@function
_ZL19rocblas_scal_kernelIlLi256E16rocblas_bfloat16fPKS0_PS0_EviT3_lT4_lT_li: ; @_ZL19rocblas_scal_kernelIlLi256E16rocblas_bfloat16fPKS0_PS0_EviT3_lT4_lT_li
; %bb.0:
	s_load_dwordx8 s[8:15], s[4:5], 0x8
	v_mov_b32_e32 v1, 0
	v_lshl_or_b32 v0, s6, 8, v0
	s_waitcnt lgkmcnt(0)
	s_mul_i32 s0, s11, s7
	s_mul_hi_u32 s1, s10, s7
	s_add_i32 s1, s1, s0
	s_mul_i32 s0, s10, s7
	s_lshl_b64 s[0:1], s[0:1], 1
	s_add_u32 s0, s8, s0
	s_addc_u32 s1, s9, s1
	global_load_ushort v1, v1, s[0:1]
	s_load_dword s0, s[4:5], 0x0
	s_waitcnt lgkmcnt(0)
	v_cmp_gt_u32_e64 s[0:1], s0, v0
	s_waitcnt vmcnt(0)
	v_lshlrev_b32_e32 v2, 16, v1
	v_cmp_neq_f32_e32 vcc, 1.0, v2
	s_and_b64 s[0:1], s[0:1], vcc
	s_and_saveexec_b64 s[2:3], s[0:1]
	s_cbranch_execz .LBB92_6
; %bb.1:
	s_load_dwordx4 s[0:3], s[4:5], 0x28
	s_waitcnt lgkmcnt(0)
	v_mad_u64_u32 v[3:4], s[4:5], s0, v0, 0
	s_mul_i32 s3, s3, s7
	s_mul_hi_u32 s6, s2, s7
	v_mov_b32_e32 v1, v4
	v_mad_u64_u32 v[0:1], s[0:1], s1, v0, v[1:2]
	s_mul_i32 s2, s2, s7
	s_add_i32 s3, s6, s3
	s_lshl_b64 s[2:3], s[2:3], 1
	s_add_u32 s2, s12, s2
	s_addc_u32 s3, s13, s3
	s_lshl_b64 s[0:1], s[14:15], 1
	v_mov_b32_e32 v4, v0
	s_add_u32 s0, s2, s0
	v_lshlrev_b64 v[0:1], 1, v[3:4]
	s_addc_u32 s1, s3, s1
	v_mov_b32_e32 v3, s1
	v_add_co_u32_e32 v0, vcc, s0, v0
	v_addc_co_u32_e32 v1, vcc, v3, v1, vcc
	global_load_ushort v3, v[0:1], off
	s_mov_b32 s0, 0x7f800000
	s_waitcnt vmcnt(0)
	v_lshlrev_b32_e32 v3, 16, v3
	v_mul_f32_e32 v2, v2, v3
	v_and_b32_e32 v3, 0x7f800000, v2
	v_cmp_ne_u32_e32 vcc, s0, v3
                                        ; implicit-def: $vgpr3
	s_and_saveexec_b64 s[0:1], vcc
	s_xor_b64 s[0:1], exec, s[0:1]
; %bb.2:
	v_bfe_u32 v3, v2, 16, 1
	s_movk_i32 s2, 0x7fff
	v_add3_u32 v3, v2, v3, s2
                                        ; implicit-def: $vgpr2
; %bb.3:
	s_andn2_saveexec_b64 s[0:1], s[0:1]
; %bb.4:
	v_mov_b32_e32 v3, 0
	v_or_b32_e32 v4, 0x10000, v2
	v_cmp_eq_u32_sdwa vcc, v2, v3 src0_sel:WORD_0 src1_sel:DWORD
	v_cndmask_b32_e32 v3, v4, v2, vcc
; %bb.5:
	s_or_b64 exec, exec, s[0:1]
	global_store_short_d16_hi v[0:1], v3, off
.LBB92_6:
	s_endpgm
	.section	.rodata,"a",@progbits
	.p2align	6, 0x0
	.amdhsa_kernel _ZL19rocblas_scal_kernelIlLi256E16rocblas_bfloat16fPKS0_PS0_EviT3_lT4_lT_li
		.amdhsa_group_segment_fixed_size 0
		.amdhsa_private_segment_fixed_size 0
		.amdhsa_kernarg_size 60
		.amdhsa_user_sgpr_count 6
		.amdhsa_user_sgpr_private_segment_buffer 1
		.amdhsa_user_sgpr_dispatch_ptr 0
		.amdhsa_user_sgpr_queue_ptr 0
		.amdhsa_user_sgpr_kernarg_segment_ptr 1
		.amdhsa_user_sgpr_dispatch_id 0
		.amdhsa_user_sgpr_flat_scratch_init 0
		.amdhsa_user_sgpr_private_segment_size 0
		.amdhsa_uses_dynamic_stack 0
		.amdhsa_system_sgpr_private_segment_wavefront_offset 0
		.amdhsa_system_sgpr_workgroup_id_x 1
		.amdhsa_system_sgpr_workgroup_id_y 0
		.amdhsa_system_sgpr_workgroup_id_z 1
		.amdhsa_system_sgpr_workgroup_info 0
		.amdhsa_system_vgpr_workitem_id 0
		.amdhsa_next_free_vgpr 5
		.amdhsa_next_free_sgpr 16
		.amdhsa_reserve_vcc 1
		.amdhsa_reserve_flat_scratch 0
		.amdhsa_float_round_mode_32 0
		.amdhsa_float_round_mode_16_64 0
		.amdhsa_float_denorm_mode_32 3
		.amdhsa_float_denorm_mode_16_64 3
		.amdhsa_dx10_clamp 1
		.amdhsa_ieee_mode 1
		.amdhsa_fp16_overflow 0
		.amdhsa_exception_fp_ieee_invalid_op 0
		.amdhsa_exception_fp_denorm_src 0
		.amdhsa_exception_fp_ieee_div_zero 0
		.amdhsa_exception_fp_ieee_overflow 0
		.amdhsa_exception_fp_ieee_underflow 0
		.amdhsa_exception_fp_ieee_inexact 0
		.amdhsa_exception_int_div_zero 0
	.end_amdhsa_kernel
	.section	.text._ZL19rocblas_scal_kernelIlLi256E16rocblas_bfloat16fPKS0_PS0_EviT3_lT4_lT_li,"axG",@progbits,_ZL19rocblas_scal_kernelIlLi256E16rocblas_bfloat16fPKS0_PS0_EviT3_lT4_lT_li,comdat
.Lfunc_end92:
	.size	_ZL19rocblas_scal_kernelIlLi256E16rocblas_bfloat16fPKS0_PS0_EviT3_lT4_lT_li, .Lfunc_end92-_ZL19rocblas_scal_kernelIlLi256E16rocblas_bfloat16fPKS0_PS0_EviT3_lT4_lT_li
                                        ; -- End function
	.set _ZL19rocblas_scal_kernelIlLi256E16rocblas_bfloat16fPKS0_PS0_EviT3_lT4_lT_li.num_vgpr, 5
	.set _ZL19rocblas_scal_kernelIlLi256E16rocblas_bfloat16fPKS0_PS0_EviT3_lT4_lT_li.num_agpr, 0
	.set _ZL19rocblas_scal_kernelIlLi256E16rocblas_bfloat16fPKS0_PS0_EviT3_lT4_lT_li.numbered_sgpr, 16
	.set _ZL19rocblas_scal_kernelIlLi256E16rocblas_bfloat16fPKS0_PS0_EviT3_lT4_lT_li.num_named_barrier, 0
	.set _ZL19rocblas_scal_kernelIlLi256E16rocblas_bfloat16fPKS0_PS0_EviT3_lT4_lT_li.private_seg_size, 0
	.set _ZL19rocblas_scal_kernelIlLi256E16rocblas_bfloat16fPKS0_PS0_EviT3_lT4_lT_li.uses_vcc, 1
	.set _ZL19rocblas_scal_kernelIlLi256E16rocblas_bfloat16fPKS0_PS0_EviT3_lT4_lT_li.uses_flat_scratch, 0
	.set _ZL19rocblas_scal_kernelIlLi256E16rocblas_bfloat16fPKS0_PS0_EviT3_lT4_lT_li.has_dyn_sized_stack, 0
	.set _ZL19rocblas_scal_kernelIlLi256E16rocblas_bfloat16fPKS0_PS0_EviT3_lT4_lT_li.has_recursion, 0
	.set _ZL19rocblas_scal_kernelIlLi256E16rocblas_bfloat16fPKS0_PS0_EviT3_lT4_lT_li.has_indirect_call, 0
	.section	.AMDGPU.csdata,"",@progbits
; Kernel info:
; codeLenInByte = 312
; TotalNumSgprs: 20
; NumVgprs: 5
; ScratchSize: 0
; MemoryBound: 0
; FloatMode: 240
; IeeeMode: 1
; LDSByteSize: 0 bytes/workgroup (compile time only)
; SGPRBlocks: 2
; VGPRBlocks: 1
; NumSGPRsForWavesPerEU: 20
; NumVGPRsForWavesPerEU: 5
; Occupancy: 10
; WaveLimiterHint : 0
; COMPUTE_PGM_RSRC2:SCRATCH_EN: 0
; COMPUTE_PGM_RSRC2:USER_SGPR: 6
; COMPUTE_PGM_RSRC2:TRAP_HANDLER: 0
; COMPUTE_PGM_RSRC2:TGID_X_EN: 1
; COMPUTE_PGM_RSRC2:TGID_Y_EN: 0
; COMPUTE_PGM_RSRC2:TGID_Z_EN: 1
; COMPUTE_PGM_RSRC2:TIDIG_COMP_CNT: 0
	.section	.text._ZL19rocblas_scal_kernelIlLi256E16rocblas_bfloat16fS0_PS0_EviT3_lT4_lT_li,"axG",@progbits,_ZL19rocblas_scal_kernelIlLi256E16rocblas_bfloat16fS0_PS0_EviT3_lT4_lT_li,comdat
	.globl	_ZL19rocblas_scal_kernelIlLi256E16rocblas_bfloat16fS0_PS0_EviT3_lT4_lT_li ; -- Begin function _ZL19rocblas_scal_kernelIlLi256E16rocblas_bfloat16fS0_PS0_EviT3_lT4_lT_li
	.p2align	8
	.type	_ZL19rocblas_scal_kernelIlLi256E16rocblas_bfloat16fS0_PS0_EviT3_lT4_lT_li,@function
_ZL19rocblas_scal_kernelIlLi256E16rocblas_bfloat16fS0_PS0_EviT3_lT4_lT_li: ; @_ZL19rocblas_scal_kernelIlLi256E16rocblas_bfloat16fS0_PS0_EviT3_lT4_lT_li
; %bb.0:
	s_load_dwordx2 s[2:3], s[4:5], 0x0
	v_lshl_or_b32 v0, s6, 8, v0
	s_waitcnt lgkmcnt(0)
	s_lshl_b32 s0, s3, 16
	v_cmp_neq_f32_e64 s[8:9], s0, 1.0
	v_cmp_gt_u32_e32 vcc, s2, v0
	s_and_b64 s[2:3], vcc, s[8:9]
	s_and_saveexec_b64 s[8:9], s[2:3]
	s_cbranch_execz .LBB93_6
; %bb.1:
	s_load_dwordx8 s[8:15], s[4:5], 0x10
	s_waitcnt lgkmcnt(0)
	s_mul_i32 s1, s15, s7
	s_mul_hi_u32 s3, s14, s7
	v_mad_u64_u32 v[1:2], s[4:5], s12, v0, 0
	s_mul_i32 s2, s14, s7
	s_add_i32 s3, s3, s1
	s_lshl_b64 s[2:3], s[2:3], 1
	s_add_u32 s1, s8, s2
	s_addc_u32 s4, s9, s3
	v_mad_u64_u32 v[2:3], s[2:3], s13, v0, v[2:3]
	s_lshl_b64 s[2:3], s[10:11], 1
	s_add_u32 s1, s1, s2
	v_lshlrev_b64 v[0:1], 1, v[1:2]
	s_addc_u32 s2, s4, s3
	v_mov_b32_e32 v2, s2
	v_add_co_u32_e32 v0, vcc, s1, v0
	v_addc_co_u32_e32 v1, vcc, v2, v1, vcc
	global_load_ushort v2, v[0:1], off
	s_waitcnt vmcnt(0)
	v_lshlrev_b32_e32 v2, 16, v2
	v_mul_f32_e32 v2, s0, v2
	s_mov_b32 s0, 0x7f800000
	v_and_b32_e32 v3, 0x7f800000, v2
	v_cmp_ne_u32_e32 vcc, s0, v3
                                        ; implicit-def: $vgpr3
	s_and_saveexec_b64 s[0:1], vcc
	s_xor_b64 s[0:1], exec, s[0:1]
; %bb.2:
	v_bfe_u32 v3, v2, 16, 1
	s_movk_i32 s2, 0x7fff
	v_add3_u32 v3, v2, v3, s2
                                        ; implicit-def: $vgpr2
; %bb.3:
	s_andn2_saveexec_b64 s[0:1], s[0:1]
; %bb.4:
	v_mov_b32_e32 v3, 0
	v_or_b32_e32 v4, 0x10000, v2
	v_cmp_eq_u32_sdwa vcc, v2, v3 src0_sel:WORD_0 src1_sel:DWORD
	v_cndmask_b32_e32 v3, v4, v2, vcc
; %bb.5:
	s_or_b64 exec, exec, s[0:1]
	global_store_short_d16_hi v[0:1], v3, off
.LBB93_6:
	s_endpgm
	.section	.rodata,"a",@progbits
	.p2align	6, 0x0
	.amdhsa_kernel _ZL19rocblas_scal_kernelIlLi256E16rocblas_bfloat16fS0_PS0_EviT3_lT4_lT_li
		.amdhsa_group_segment_fixed_size 0
		.amdhsa_private_segment_fixed_size 0
		.amdhsa_kernarg_size 52
		.amdhsa_user_sgpr_count 6
		.amdhsa_user_sgpr_private_segment_buffer 1
		.amdhsa_user_sgpr_dispatch_ptr 0
		.amdhsa_user_sgpr_queue_ptr 0
		.amdhsa_user_sgpr_kernarg_segment_ptr 1
		.amdhsa_user_sgpr_dispatch_id 0
		.amdhsa_user_sgpr_flat_scratch_init 0
		.amdhsa_user_sgpr_private_segment_size 0
		.amdhsa_uses_dynamic_stack 0
		.amdhsa_system_sgpr_private_segment_wavefront_offset 0
		.amdhsa_system_sgpr_workgroup_id_x 1
		.amdhsa_system_sgpr_workgroup_id_y 0
		.amdhsa_system_sgpr_workgroup_id_z 1
		.amdhsa_system_sgpr_workgroup_info 0
		.amdhsa_system_vgpr_workitem_id 0
		.amdhsa_next_free_vgpr 5
		.amdhsa_next_free_sgpr 16
		.amdhsa_reserve_vcc 1
		.amdhsa_reserve_flat_scratch 0
		.amdhsa_float_round_mode_32 0
		.amdhsa_float_round_mode_16_64 0
		.amdhsa_float_denorm_mode_32 3
		.amdhsa_float_denorm_mode_16_64 3
		.amdhsa_dx10_clamp 1
		.amdhsa_ieee_mode 1
		.amdhsa_fp16_overflow 0
		.amdhsa_exception_fp_ieee_invalid_op 0
		.amdhsa_exception_fp_denorm_src 0
		.amdhsa_exception_fp_ieee_div_zero 0
		.amdhsa_exception_fp_ieee_overflow 0
		.amdhsa_exception_fp_ieee_underflow 0
		.amdhsa_exception_fp_ieee_inexact 0
		.amdhsa_exception_int_div_zero 0
	.end_amdhsa_kernel
	.section	.text._ZL19rocblas_scal_kernelIlLi256E16rocblas_bfloat16fS0_PS0_EviT3_lT4_lT_li,"axG",@progbits,_ZL19rocblas_scal_kernelIlLi256E16rocblas_bfloat16fS0_PS0_EviT3_lT4_lT_li,comdat
.Lfunc_end93:
	.size	_ZL19rocblas_scal_kernelIlLi256E16rocblas_bfloat16fS0_PS0_EviT3_lT4_lT_li, .Lfunc_end93-_ZL19rocblas_scal_kernelIlLi256E16rocblas_bfloat16fS0_PS0_EviT3_lT4_lT_li
                                        ; -- End function
	.set _ZL19rocblas_scal_kernelIlLi256E16rocblas_bfloat16fS0_PS0_EviT3_lT4_lT_li.num_vgpr, 5
	.set _ZL19rocblas_scal_kernelIlLi256E16rocblas_bfloat16fS0_PS0_EviT3_lT4_lT_li.num_agpr, 0
	.set _ZL19rocblas_scal_kernelIlLi256E16rocblas_bfloat16fS0_PS0_EviT3_lT4_lT_li.numbered_sgpr, 16
	.set _ZL19rocblas_scal_kernelIlLi256E16rocblas_bfloat16fS0_PS0_EviT3_lT4_lT_li.num_named_barrier, 0
	.set _ZL19rocblas_scal_kernelIlLi256E16rocblas_bfloat16fS0_PS0_EviT3_lT4_lT_li.private_seg_size, 0
	.set _ZL19rocblas_scal_kernelIlLi256E16rocblas_bfloat16fS0_PS0_EviT3_lT4_lT_li.uses_vcc, 1
	.set _ZL19rocblas_scal_kernelIlLi256E16rocblas_bfloat16fS0_PS0_EviT3_lT4_lT_li.uses_flat_scratch, 0
	.set _ZL19rocblas_scal_kernelIlLi256E16rocblas_bfloat16fS0_PS0_EviT3_lT4_lT_li.has_dyn_sized_stack, 0
	.set _ZL19rocblas_scal_kernelIlLi256E16rocblas_bfloat16fS0_PS0_EviT3_lT4_lT_li.has_recursion, 0
	.set _ZL19rocblas_scal_kernelIlLi256E16rocblas_bfloat16fS0_PS0_EviT3_lT4_lT_li.has_indirect_call, 0
	.section	.AMDGPU.csdata,"",@progbits
; Kernel info:
; codeLenInByte = 248
; TotalNumSgprs: 20
; NumVgprs: 5
; ScratchSize: 0
; MemoryBound: 0
; FloatMode: 240
; IeeeMode: 1
; LDSByteSize: 0 bytes/workgroup (compile time only)
; SGPRBlocks: 2
; VGPRBlocks: 1
; NumSGPRsForWavesPerEU: 20
; NumVGPRsForWavesPerEU: 5
; Occupancy: 10
; WaveLimiterHint : 0
; COMPUTE_PGM_RSRC2:SCRATCH_EN: 0
; COMPUTE_PGM_RSRC2:USER_SGPR: 6
; COMPUTE_PGM_RSRC2:TRAP_HANDLER: 0
; COMPUTE_PGM_RSRC2:TGID_X_EN: 1
; COMPUTE_PGM_RSRC2:TGID_Y_EN: 0
; COMPUTE_PGM_RSRC2:TGID_Z_EN: 1
; COMPUTE_PGM_RSRC2:TIDIG_COMP_CNT: 0
	.section	.text._ZL22rocblas_sscal_2_kernelILi256E16rocblas_bfloat16fPKfPS0_EviT2_lT3_lli,"axG",@progbits,_ZL22rocblas_sscal_2_kernelILi256E16rocblas_bfloat16fPKfPS0_EviT2_lT3_lli,comdat
	.globl	_ZL22rocblas_sscal_2_kernelILi256E16rocblas_bfloat16fPKfPS0_EviT2_lT3_lli ; -- Begin function _ZL22rocblas_sscal_2_kernelILi256E16rocblas_bfloat16fPKfPS0_EviT2_lT3_lli
	.p2align	8
	.type	_ZL22rocblas_sscal_2_kernelILi256E16rocblas_bfloat16fPKfPS0_EviT2_lT3_lli,@function
_ZL22rocblas_sscal_2_kernelILi256E16rocblas_bfloat16fPKfPS0_EviT2_lT3_lli: ; @_ZL22rocblas_sscal_2_kernelILi256E16rocblas_bfloat16fPKfPS0_EviT2_lT3_lli
; %bb.0:
	s_load_dwordx4 s[0:3], s[4:5], 0x8
	s_waitcnt lgkmcnt(0)
	s_mul_i32 s3, s3, s7
	s_mul_hi_u32 s8, s2, s7
	s_add_i32 s3, s8, s3
	s_mul_i32 s2, s2, s7
	s_lshl_b64 s[2:3], s[2:3], 2
	s_add_u32 s0, s0, s2
	s_addc_u32 s1, s1, s3
	s_load_dword s8, s[0:1], 0x0
	s_waitcnt lgkmcnt(0)
	v_cmp_eq_f32_e64 s[0:1], s8, 1.0
	s_and_b64 vcc, exec, s[0:1]
	s_cbranch_vccnz .LBB94_17
; %bb.1:
	s_load_dwordx4 s[0:3], s[4:5], 0x20
	s_load_dwordx2 s[10:11], s[4:5], 0x18
	s_load_dword s9, s[4:5], 0x0
	v_lshlrev_b32_e32 v0, 1, v0
	v_lshl_or_b32 v0, s6, 9, v0
	s_waitcnt lgkmcnt(0)
	s_mul_i32 s3, s3, s7
	s_mul_hi_u32 s4, s2, s7
	s_add_i32 s3, s4, s3
	s_mul_i32 s2, s2, s7
	s_lshl_b64 s[2:3], s[2:3], 1
	s_add_u32 s2, s10, s2
	s_addc_u32 s3, s11, s3
	s_lshl_b64 s[0:1], s[0:1], 1
	s_add_u32 s4, s2, s0
	v_or_b32_e32 v1, 1, v0
	s_addc_u32 s5, s3, s1
	v_cmp_gt_u32_e32 vcc, s9, v1
	s_and_saveexec_b64 s[0:1], vcc
	s_cbranch_execz .LBB94_11
; %bb.2:
	v_mov_b32_e32 v1, 0
	v_lshlrev_b64 v[1:2], 1, v[0:1]
	v_mov_b32_e32 v3, s5
	v_add_co_u32_e32 v1, vcc, s4, v1
	v_addc_co_u32_e32 v2, vcc, v3, v2, vcc
	global_load_ushort v3, v[1:2], off
	s_mov_b32 s2, 0x7f800000
	s_waitcnt vmcnt(0)
	v_lshlrev_b32_e32 v3, 16, v3
	v_mul_f32_e32 v3, s8, v3
	v_and_b32_e32 v4, 0x7f800000, v3
	v_cmp_ne_u32_e32 vcc, s2, v4
                                        ; implicit-def: $vgpr4
	s_and_saveexec_b64 s[2:3], vcc
	s_xor_b64 s[2:3], exec, s[2:3]
; %bb.3:
	v_bfe_u32 v4, v3, 16, 1
	s_movk_i32 s6, 0x7fff
	v_add3_u32 v4, v3, v4, s6
                                        ; implicit-def: $vgpr3
; %bb.4:
	s_andn2_saveexec_b64 s[2:3], s[2:3]
; %bb.5:
	v_mov_b32_e32 v4, 0
	v_or_b32_e32 v5, 0x10000, v3
	v_cmp_eq_u32_sdwa vcc, v3, v4 src0_sel:WORD_0 src1_sel:DWORD
	v_cndmask_b32_e32 v4, v5, v3, vcc
; %bb.6:
	s_or_b64 exec, exec, s[2:3]
	global_load_ushort v3, v[1:2], off offset:2
	s_mov_b32 s2, 0x7f800000
	global_store_short_d16_hi v[1:2], v4, off
	s_waitcnt vmcnt(1)
	v_lshlrev_b32_e32 v3, 16, v3
	v_mul_f32_e32 v3, s8, v3
	v_and_b32_e32 v4, 0x7f800000, v3
	v_cmp_ne_u32_e32 vcc, s2, v4
                                        ; implicit-def: $vgpr4
	s_and_saveexec_b64 s[2:3], vcc
	s_xor_b64 s[2:3], exec, s[2:3]
; %bb.7:
	v_bfe_u32 v4, v3, 16, 1
	s_movk_i32 s6, 0x7fff
	v_add3_u32 v4, v3, v4, s6
                                        ; implicit-def: $vgpr3
; %bb.8:
	s_andn2_saveexec_b64 s[2:3], s[2:3]
; %bb.9:
	v_mov_b32_e32 v4, 0
	v_or_b32_e32 v5, 0x10000, v3
	v_cmp_eq_u32_sdwa vcc, v3, v4 src0_sel:WORD_0 src1_sel:DWORD
	v_cndmask_b32_e32 v4, v5, v3, vcc
; %bb.10:
	s_or_b64 exec, exec, s[2:3]
	global_store_short_d16_hi v[1:2], v4, off offset:2
.LBB94_11:
	s_or_b64 exec, exec, s[0:1]
	s_bitcmp1_b32 s9, 0
	s_cselect_b64 s[0:1], -1, 0
	s_add_i32 s9, s9, -1
	v_cmp_eq_u32_e32 vcc, s9, v0
	s_and_b64 s[0:1], s[0:1], vcc
	s_and_saveexec_b64 s[2:3], s[0:1]
	s_cbranch_execz .LBB94_17
; %bb.12:
	v_mov_b32_e32 v1, 0
	v_lshlrev_b64 v[0:1], 1, v[0:1]
	v_mov_b32_e32 v2, s5
	v_add_co_u32_e32 v0, vcc, s4, v0
	v_addc_co_u32_e32 v1, vcc, v2, v1, vcc
	global_load_ushort v2, v[0:1], off
	s_mov_b32 s0, 0x7f800000
	s_waitcnt vmcnt(0)
	v_lshlrev_b32_e32 v2, 16, v2
	v_mul_f32_e32 v2, s8, v2
	v_and_b32_e32 v3, 0x7f800000, v2
	v_cmp_ne_u32_e32 vcc, s0, v3
                                        ; implicit-def: $vgpr3
	s_and_saveexec_b64 s[0:1], vcc
	s_xor_b64 s[0:1], exec, s[0:1]
; %bb.13:
	v_bfe_u32 v3, v2, 16, 1
	s_movk_i32 s2, 0x7fff
	v_add3_u32 v3, v2, v3, s2
                                        ; implicit-def: $vgpr2
; %bb.14:
	s_andn2_saveexec_b64 s[0:1], s[0:1]
; %bb.15:
	v_mov_b32_e32 v3, 0
	v_or_b32_e32 v4, 0x10000, v2
	v_cmp_eq_u32_sdwa vcc, v2, v3 src0_sel:WORD_0 src1_sel:DWORD
	v_cndmask_b32_e32 v3, v4, v2, vcc
; %bb.16:
	s_or_b64 exec, exec, s[0:1]
	global_store_short_d16_hi v[0:1], v3, off
.LBB94_17:
	s_endpgm
	.section	.rodata,"a",@progbits
	.p2align	6, 0x0
	.amdhsa_kernel _ZL22rocblas_sscal_2_kernelILi256E16rocblas_bfloat16fPKfPS0_EviT2_lT3_lli
		.amdhsa_group_segment_fixed_size 0
		.amdhsa_private_segment_fixed_size 0
		.amdhsa_kernarg_size 52
		.amdhsa_user_sgpr_count 6
		.amdhsa_user_sgpr_private_segment_buffer 1
		.amdhsa_user_sgpr_dispatch_ptr 0
		.amdhsa_user_sgpr_queue_ptr 0
		.amdhsa_user_sgpr_kernarg_segment_ptr 1
		.amdhsa_user_sgpr_dispatch_id 0
		.amdhsa_user_sgpr_flat_scratch_init 0
		.amdhsa_user_sgpr_private_segment_size 0
		.amdhsa_uses_dynamic_stack 0
		.amdhsa_system_sgpr_private_segment_wavefront_offset 0
		.amdhsa_system_sgpr_workgroup_id_x 1
		.amdhsa_system_sgpr_workgroup_id_y 0
		.amdhsa_system_sgpr_workgroup_id_z 1
		.amdhsa_system_sgpr_workgroup_info 0
		.amdhsa_system_vgpr_workitem_id 0
		.amdhsa_next_free_vgpr 6
		.amdhsa_next_free_sgpr 12
		.amdhsa_reserve_vcc 1
		.amdhsa_reserve_flat_scratch 0
		.amdhsa_float_round_mode_32 0
		.amdhsa_float_round_mode_16_64 0
		.amdhsa_float_denorm_mode_32 3
		.amdhsa_float_denorm_mode_16_64 3
		.amdhsa_dx10_clamp 1
		.amdhsa_ieee_mode 1
		.amdhsa_fp16_overflow 0
		.amdhsa_exception_fp_ieee_invalid_op 0
		.amdhsa_exception_fp_denorm_src 0
		.amdhsa_exception_fp_ieee_div_zero 0
		.amdhsa_exception_fp_ieee_overflow 0
		.amdhsa_exception_fp_ieee_underflow 0
		.amdhsa_exception_fp_ieee_inexact 0
		.amdhsa_exception_int_div_zero 0
	.end_amdhsa_kernel
	.section	.text._ZL22rocblas_sscal_2_kernelILi256E16rocblas_bfloat16fPKfPS0_EviT2_lT3_lli,"axG",@progbits,_ZL22rocblas_sscal_2_kernelILi256E16rocblas_bfloat16fPKfPS0_EviT2_lT3_lli,comdat
.Lfunc_end94:
	.size	_ZL22rocblas_sscal_2_kernelILi256E16rocblas_bfloat16fPKfPS0_EviT2_lT3_lli, .Lfunc_end94-_ZL22rocblas_sscal_2_kernelILi256E16rocblas_bfloat16fPKfPS0_EviT2_lT3_lli
                                        ; -- End function
	.set _ZL22rocblas_sscal_2_kernelILi256E16rocblas_bfloat16fPKfPS0_EviT2_lT3_lli.num_vgpr, 6
	.set _ZL22rocblas_sscal_2_kernelILi256E16rocblas_bfloat16fPKfPS0_EviT2_lT3_lli.num_agpr, 0
	.set _ZL22rocblas_sscal_2_kernelILi256E16rocblas_bfloat16fPKfPS0_EviT2_lT3_lli.numbered_sgpr, 12
	.set _ZL22rocblas_sscal_2_kernelILi256E16rocblas_bfloat16fPKfPS0_EviT2_lT3_lli.num_named_barrier, 0
	.set _ZL22rocblas_sscal_2_kernelILi256E16rocblas_bfloat16fPKfPS0_EviT2_lT3_lli.private_seg_size, 0
	.set _ZL22rocblas_sscal_2_kernelILi256E16rocblas_bfloat16fPKfPS0_EviT2_lT3_lli.uses_vcc, 1
	.set _ZL22rocblas_sscal_2_kernelILi256E16rocblas_bfloat16fPKfPS0_EviT2_lT3_lli.uses_flat_scratch, 0
	.set _ZL22rocblas_sscal_2_kernelILi256E16rocblas_bfloat16fPKfPS0_EviT2_lT3_lli.has_dyn_sized_stack, 0
	.set _ZL22rocblas_sscal_2_kernelILi256E16rocblas_bfloat16fPKfPS0_EviT2_lT3_lli.has_recursion, 0
	.set _ZL22rocblas_sscal_2_kernelILi256E16rocblas_bfloat16fPKfPS0_EviT2_lT3_lli.has_indirect_call, 0
	.section	.AMDGPU.csdata,"",@progbits
; Kernel info:
; codeLenInByte = 572
; TotalNumSgprs: 16
; NumVgprs: 6
; ScratchSize: 0
; MemoryBound: 0
; FloatMode: 240
; IeeeMode: 1
; LDSByteSize: 0 bytes/workgroup (compile time only)
; SGPRBlocks: 1
; VGPRBlocks: 1
; NumSGPRsForWavesPerEU: 16
; NumVGPRsForWavesPerEU: 6
; Occupancy: 10
; WaveLimiterHint : 0
; COMPUTE_PGM_RSRC2:SCRATCH_EN: 0
; COMPUTE_PGM_RSRC2:USER_SGPR: 6
; COMPUTE_PGM_RSRC2:TRAP_HANDLER: 0
; COMPUTE_PGM_RSRC2:TGID_X_EN: 1
; COMPUTE_PGM_RSRC2:TGID_Y_EN: 0
; COMPUTE_PGM_RSRC2:TGID_Z_EN: 1
; COMPUTE_PGM_RSRC2:TIDIG_COMP_CNT: 0
	.section	.text._ZL22rocblas_sscal_2_kernelILi256E16rocblas_bfloat16ffPS0_EviT2_lT3_lli,"axG",@progbits,_ZL22rocblas_sscal_2_kernelILi256E16rocblas_bfloat16ffPS0_EviT2_lT3_lli,comdat
	.globl	_ZL22rocblas_sscal_2_kernelILi256E16rocblas_bfloat16ffPS0_EviT2_lT3_lli ; -- Begin function _ZL22rocblas_sscal_2_kernelILi256E16rocblas_bfloat16ffPS0_EviT2_lT3_lli
	.p2align	8
	.type	_ZL22rocblas_sscal_2_kernelILi256E16rocblas_bfloat16ffPS0_EviT2_lT3_lli,@function
_ZL22rocblas_sscal_2_kernelILi256E16rocblas_bfloat16ffPS0_EviT2_lT3_lli: ; @_ZL22rocblas_sscal_2_kernelILi256E16rocblas_bfloat16ffPS0_EviT2_lT3_lli
; %bb.0:
	s_load_dwordx2 s[0:1], s[4:5], 0x0
	s_waitcnt lgkmcnt(0)
	v_cmp_eq_f32_e64 s[2:3], s1, 1.0
	s_and_b64 vcc, exec, s[2:3]
	s_cbranch_vccnz .LBB95_17
; %bb.1:
	s_load_dwordx4 s[8:11], s[4:5], 0x18
	s_load_dwordx2 s[2:3], s[4:5], 0x10
	v_lshlrev_b32_e32 v0, 1, v0
	v_lshl_or_b32 v0, s6, 9, v0
	v_or_b32_e32 v1, 1, v0
	s_waitcnt lgkmcnt(0)
	s_mul_i32 s4, s11, s7
	s_mul_hi_u32 s5, s10, s7
	s_add_i32 s5, s5, s4
	s_mul_i32 s4, s10, s7
	s_lshl_b64 s[4:5], s[4:5], 1
	s_add_u32 s4, s2, s4
	s_addc_u32 s5, s3, s5
	s_lshl_b64 s[2:3], s[8:9], 1
	s_add_u32 s6, s4, s2
	s_addc_u32 s7, s5, s3
	v_cmp_gt_u32_e32 vcc, s0, v1
	s_and_saveexec_b64 s[2:3], vcc
	s_cbranch_execz .LBB95_11
; %bb.2:
	v_mov_b32_e32 v1, 0
	v_lshlrev_b64 v[1:2], 1, v[0:1]
	v_mov_b32_e32 v3, s7
	v_add_co_u32_e32 v1, vcc, s6, v1
	v_addc_co_u32_e32 v2, vcc, v3, v2, vcc
	global_load_ushort v3, v[1:2], off
	s_mov_b32 s4, 0x7f800000
	s_waitcnt vmcnt(0)
	v_lshlrev_b32_e32 v3, 16, v3
	v_mul_f32_e32 v3, s1, v3
	v_and_b32_e32 v4, 0x7f800000, v3
	v_cmp_ne_u32_e32 vcc, s4, v4
                                        ; implicit-def: $vgpr4
	s_and_saveexec_b64 s[4:5], vcc
	s_xor_b64 s[4:5], exec, s[4:5]
; %bb.3:
	v_bfe_u32 v4, v3, 16, 1
	s_movk_i32 s8, 0x7fff
	v_add3_u32 v4, v3, v4, s8
                                        ; implicit-def: $vgpr3
; %bb.4:
	s_andn2_saveexec_b64 s[4:5], s[4:5]
; %bb.5:
	v_mov_b32_e32 v4, 0
	v_or_b32_e32 v5, 0x10000, v3
	v_cmp_eq_u32_sdwa vcc, v3, v4 src0_sel:WORD_0 src1_sel:DWORD
	v_cndmask_b32_e32 v4, v5, v3, vcc
; %bb.6:
	s_or_b64 exec, exec, s[4:5]
	global_load_ushort v3, v[1:2], off offset:2
	s_mov_b32 s4, 0x7f800000
	global_store_short_d16_hi v[1:2], v4, off
	s_waitcnt vmcnt(1)
	v_lshlrev_b32_e32 v3, 16, v3
	v_mul_f32_e32 v3, s1, v3
	v_and_b32_e32 v4, 0x7f800000, v3
	v_cmp_ne_u32_e32 vcc, s4, v4
                                        ; implicit-def: $vgpr4
	s_and_saveexec_b64 s[4:5], vcc
	s_xor_b64 s[4:5], exec, s[4:5]
; %bb.7:
	v_bfe_u32 v4, v3, 16, 1
	s_movk_i32 s8, 0x7fff
	v_add3_u32 v4, v3, v4, s8
                                        ; implicit-def: $vgpr3
; %bb.8:
	s_andn2_saveexec_b64 s[4:5], s[4:5]
; %bb.9:
	v_mov_b32_e32 v4, 0
	v_or_b32_e32 v5, 0x10000, v3
	v_cmp_eq_u32_sdwa vcc, v3, v4 src0_sel:WORD_0 src1_sel:DWORD
	v_cndmask_b32_e32 v4, v5, v3, vcc
; %bb.10:
	s_or_b64 exec, exec, s[4:5]
	global_store_short_d16_hi v[1:2], v4, off offset:2
.LBB95_11:
	s_or_b64 exec, exec, s[2:3]
	s_bitcmp1_b32 s0, 0
	s_cselect_b64 s[2:3], -1, 0
	s_add_i32 s0, s0, -1
	v_cmp_eq_u32_e32 vcc, s0, v0
	s_and_b64 s[2:3], s[2:3], vcc
	s_and_saveexec_b64 s[4:5], s[2:3]
	s_cbranch_execz .LBB95_17
; %bb.12:
	v_mov_b32_e32 v1, 0
	v_lshlrev_b64 v[0:1], 1, v[0:1]
	v_mov_b32_e32 v2, s7
	v_add_co_u32_e32 v0, vcc, s6, v0
	v_addc_co_u32_e32 v1, vcc, v2, v1, vcc
	global_load_ushort v2, v[0:1], off
	s_mov_b32 s0, 0x7f800000
	s_waitcnt vmcnt(0)
	v_lshlrev_b32_e32 v2, 16, v2
	v_mul_f32_e32 v2, s1, v2
	v_and_b32_e32 v3, 0x7f800000, v2
	v_cmp_ne_u32_e32 vcc, s0, v3
                                        ; implicit-def: $vgpr3
	s_and_saveexec_b64 s[0:1], vcc
	s_xor_b64 s[0:1], exec, s[0:1]
; %bb.13:
	v_bfe_u32 v3, v2, 16, 1
	s_movk_i32 s2, 0x7fff
	v_add3_u32 v3, v2, v3, s2
                                        ; implicit-def: $vgpr2
; %bb.14:
	s_andn2_saveexec_b64 s[0:1], s[0:1]
; %bb.15:
	v_mov_b32_e32 v3, 0
	v_or_b32_e32 v4, 0x10000, v2
	v_cmp_eq_u32_sdwa vcc, v2, v3 src0_sel:WORD_0 src1_sel:DWORD
	v_cndmask_b32_e32 v3, v4, v2, vcc
; %bb.16:
	s_or_b64 exec, exec, s[0:1]
	global_store_short_d16_hi v[0:1], v3, off
.LBB95_17:
	s_endpgm
	.section	.rodata,"a",@progbits
	.p2align	6, 0x0
	.amdhsa_kernel _ZL22rocblas_sscal_2_kernelILi256E16rocblas_bfloat16ffPS0_EviT2_lT3_lli
		.amdhsa_group_segment_fixed_size 0
		.amdhsa_private_segment_fixed_size 0
		.amdhsa_kernarg_size 44
		.amdhsa_user_sgpr_count 6
		.amdhsa_user_sgpr_private_segment_buffer 1
		.amdhsa_user_sgpr_dispatch_ptr 0
		.amdhsa_user_sgpr_queue_ptr 0
		.amdhsa_user_sgpr_kernarg_segment_ptr 1
		.amdhsa_user_sgpr_dispatch_id 0
		.amdhsa_user_sgpr_flat_scratch_init 0
		.amdhsa_user_sgpr_private_segment_size 0
		.amdhsa_uses_dynamic_stack 0
		.amdhsa_system_sgpr_private_segment_wavefront_offset 0
		.amdhsa_system_sgpr_workgroup_id_x 1
		.amdhsa_system_sgpr_workgroup_id_y 0
		.amdhsa_system_sgpr_workgroup_id_z 1
		.amdhsa_system_sgpr_workgroup_info 0
		.amdhsa_system_vgpr_workitem_id 0
		.amdhsa_next_free_vgpr 6
		.amdhsa_next_free_sgpr 12
		.amdhsa_reserve_vcc 1
		.amdhsa_reserve_flat_scratch 0
		.amdhsa_float_round_mode_32 0
		.amdhsa_float_round_mode_16_64 0
		.amdhsa_float_denorm_mode_32 3
		.amdhsa_float_denorm_mode_16_64 3
		.amdhsa_dx10_clamp 1
		.amdhsa_ieee_mode 1
		.amdhsa_fp16_overflow 0
		.amdhsa_exception_fp_ieee_invalid_op 0
		.amdhsa_exception_fp_denorm_src 0
		.amdhsa_exception_fp_ieee_div_zero 0
		.amdhsa_exception_fp_ieee_overflow 0
		.amdhsa_exception_fp_ieee_underflow 0
		.amdhsa_exception_fp_ieee_inexact 0
		.amdhsa_exception_int_div_zero 0
	.end_amdhsa_kernel
	.section	.text._ZL22rocblas_sscal_2_kernelILi256E16rocblas_bfloat16ffPS0_EviT2_lT3_lli,"axG",@progbits,_ZL22rocblas_sscal_2_kernelILi256E16rocblas_bfloat16ffPS0_EviT2_lT3_lli,comdat
.Lfunc_end95:
	.size	_ZL22rocblas_sscal_2_kernelILi256E16rocblas_bfloat16ffPS0_EviT2_lT3_lli, .Lfunc_end95-_ZL22rocblas_sscal_2_kernelILi256E16rocblas_bfloat16ffPS0_EviT2_lT3_lli
                                        ; -- End function
	.set _ZL22rocblas_sscal_2_kernelILi256E16rocblas_bfloat16ffPS0_EviT2_lT3_lli.num_vgpr, 6
	.set _ZL22rocblas_sscal_2_kernelILi256E16rocblas_bfloat16ffPS0_EviT2_lT3_lli.num_agpr, 0
	.set _ZL22rocblas_sscal_2_kernelILi256E16rocblas_bfloat16ffPS0_EviT2_lT3_lli.numbered_sgpr, 12
	.set _ZL22rocblas_sscal_2_kernelILi256E16rocblas_bfloat16ffPS0_EviT2_lT3_lli.num_named_barrier, 0
	.set _ZL22rocblas_sscal_2_kernelILi256E16rocblas_bfloat16ffPS0_EviT2_lT3_lli.private_seg_size, 0
	.set _ZL22rocblas_sscal_2_kernelILi256E16rocblas_bfloat16ffPS0_EviT2_lT3_lli.uses_vcc, 1
	.set _ZL22rocblas_sscal_2_kernelILi256E16rocblas_bfloat16ffPS0_EviT2_lT3_lli.uses_flat_scratch, 0
	.set _ZL22rocblas_sscal_2_kernelILi256E16rocblas_bfloat16ffPS0_EviT2_lT3_lli.has_dyn_sized_stack, 0
	.set _ZL22rocblas_sscal_2_kernelILi256E16rocblas_bfloat16ffPS0_EviT2_lT3_lli.has_recursion, 0
	.set _ZL22rocblas_sscal_2_kernelILi256E16rocblas_bfloat16ffPS0_EviT2_lT3_lli.has_indirect_call, 0
	.section	.AMDGPU.csdata,"",@progbits
; Kernel info:
; codeLenInByte = 524
; TotalNumSgprs: 16
; NumVgprs: 6
; ScratchSize: 0
; MemoryBound: 0
; FloatMode: 240
; IeeeMode: 1
; LDSByteSize: 0 bytes/workgroup (compile time only)
; SGPRBlocks: 1
; VGPRBlocks: 1
; NumSGPRsForWavesPerEU: 16
; NumVGPRsForWavesPerEU: 6
; Occupancy: 10
; WaveLimiterHint : 0
; COMPUTE_PGM_RSRC2:SCRATCH_EN: 0
; COMPUTE_PGM_RSRC2:USER_SGPR: 6
; COMPUTE_PGM_RSRC2:TRAP_HANDLER: 0
; COMPUTE_PGM_RSRC2:TGID_X_EN: 1
; COMPUTE_PGM_RSRC2:TGID_Y_EN: 0
; COMPUTE_PGM_RSRC2:TGID_Z_EN: 1
; COMPUTE_PGM_RSRC2:TIDIG_COMP_CNT: 0
	.section	.text._ZL19rocblas_scal_kernelIiLi256E16rocblas_bfloat16fPKfPS0_EviT3_lT4_lT_li,"axG",@progbits,_ZL19rocblas_scal_kernelIiLi256E16rocblas_bfloat16fPKfPS0_EviT3_lT4_lT_li,comdat
	.globl	_ZL19rocblas_scal_kernelIiLi256E16rocblas_bfloat16fPKfPS0_EviT3_lT4_lT_li ; -- Begin function _ZL19rocblas_scal_kernelIiLi256E16rocblas_bfloat16fPKfPS0_EviT3_lT4_lT_li
	.p2align	8
	.type	_ZL19rocblas_scal_kernelIiLi256E16rocblas_bfloat16fPKfPS0_EviT3_lT4_lT_li,@function
_ZL19rocblas_scal_kernelIiLi256E16rocblas_bfloat16fPKfPS0_EviT3_lT4_lT_li: ; @_ZL19rocblas_scal_kernelIiLi256E16rocblas_bfloat16fPKfPS0_EviT3_lT4_lT_li
; %bb.0:
	s_load_dwordx8 s[8:15], s[4:5], 0x8
	v_lshl_or_b32 v0, s6, 8, v0
	s_waitcnt lgkmcnt(0)
	s_mul_i32 s0, s11, s7
	s_mul_hi_u32 s1, s10, s7
	s_add_i32 s1, s1, s0
	s_mul_i32 s0, s10, s7
	s_lshl_b64 s[0:1], s[0:1], 2
	s_add_u32 s2, s8, s0
	s_addc_u32 s3, s9, s1
	s_load_dword s0, s[2:3], 0x0
	s_load_dword s1, s[4:5], 0x0
	s_waitcnt lgkmcnt(0)
	v_cmp_neq_f32_e64 s[2:3], s0, 1.0
	v_cmp_gt_u32_e32 vcc, s1, v0
	s_and_b64 s[2:3], vcc, s[2:3]
	s_and_saveexec_b64 s[8:9], s[2:3]
	s_cbranch_execz .LBB96_6
; %bb.1:
	s_load_dword s1, s[4:5], 0x28
	s_load_dwordx2 s[2:3], s[4:5], 0x30
	s_waitcnt lgkmcnt(0)
	s_ashr_i32 s6, s1, 31
	s_mul_i32 s3, s3, s7
	s_mul_hi_u32 s4, s2, s7
	s_add_i32 s3, s4, s3
	v_mad_u64_u32 v[1:2], s[4:5], s1, v0, 0
	s_mul_i32 s2, s2, s7
	s_lshl_b64 s[2:3], s[2:3], 1
	s_add_u32 s1, s12, s2
	s_addc_u32 s4, s13, s3
	v_mad_u64_u32 v[2:3], s[2:3], s6, v0, v[2:3]
	s_lshl_b64 s[2:3], s[14:15], 1
	s_add_u32 s1, s1, s2
	v_lshlrev_b64 v[0:1], 1, v[1:2]
	s_addc_u32 s2, s4, s3
	v_mov_b32_e32 v2, s2
	v_add_co_u32_e32 v0, vcc, s1, v0
	v_addc_co_u32_e32 v1, vcc, v2, v1, vcc
	global_load_ushort v2, v[0:1], off
	s_waitcnt vmcnt(0)
	v_lshlrev_b32_e32 v2, 16, v2
	v_mul_f32_e32 v2, s0, v2
	s_mov_b32 s0, 0x7f800000
	v_and_b32_e32 v3, 0x7f800000, v2
	v_cmp_ne_u32_e32 vcc, s0, v3
                                        ; implicit-def: $vgpr3
	s_and_saveexec_b64 s[0:1], vcc
	s_xor_b64 s[0:1], exec, s[0:1]
; %bb.2:
	v_bfe_u32 v3, v2, 16, 1
	s_movk_i32 s2, 0x7fff
	v_add3_u32 v3, v2, v3, s2
                                        ; implicit-def: $vgpr2
; %bb.3:
	s_andn2_saveexec_b64 s[0:1], s[0:1]
; %bb.4:
	v_mov_b32_e32 v3, 0
	v_or_b32_e32 v4, 0x10000, v2
	v_cmp_eq_u32_sdwa vcc, v2, v3 src0_sel:WORD_0 src1_sel:DWORD
	v_cndmask_b32_e32 v3, v4, v2, vcc
; %bb.5:
	s_or_b64 exec, exec, s[0:1]
	global_store_short_d16_hi v[0:1], v3, off
.LBB96_6:
	s_endpgm
	.section	.rodata,"a",@progbits
	.p2align	6, 0x0
	.amdhsa_kernel _ZL19rocblas_scal_kernelIiLi256E16rocblas_bfloat16fPKfPS0_EviT3_lT4_lT_li
		.amdhsa_group_segment_fixed_size 0
		.amdhsa_private_segment_fixed_size 0
		.amdhsa_kernarg_size 60
		.amdhsa_user_sgpr_count 6
		.amdhsa_user_sgpr_private_segment_buffer 1
		.amdhsa_user_sgpr_dispatch_ptr 0
		.amdhsa_user_sgpr_queue_ptr 0
		.amdhsa_user_sgpr_kernarg_segment_ptr 1
		.amdhsa_user_sgpr_dispatch_id 0
		.amdhsa_user_sgpr_flat_scratch_init 0
		.amdhsa_user_sgpr_private_segment_size 0
		.amdhsa_uses_dynamic_stack 0
		.amdhsa_system_sgpr_private_segment_wavefront_offset 0
		.amdhsa_system_sgpr_workgroup_id_x 1
		.amdhsa_system_sgpr_workgroup_id_y 0
		.amdhsa_system_sgpr_workgroup_id_z 1
		.amdhsa_system_sgpr_workgroup_info 0
		.amdhsa_system_vgpr_workitem_id 0
		.amdhsa_next_free_vgpr 5
		.amdhsa_next_free_sgpr 16
		.amdhsa_reserve_vcc 1
		.amdhsa_reserve_flat_scratch 0
		.amdhsa_float_round_mode_32 0
		.amdhsa_float_round_mode_16_64 0
		.amdhsa_float_denorm_mode_32 3
		.amdhsa_float_denorm_mode_16_64 3
		.amdhsa_dx10_clamp 1
		.amdhsa_ieee_mode 1
		.amdhsa_fp16_overflow 0
		.amdhsa_exception_fp_ieee_invalid_op 0
		.amdhsa_exception_fp_denorm_src 0
		.amdhsa_exception_fp_ieee_div_zero 0
		.amdhsa_exception_fp_ieee_overflow 0
		.amdhsa_exception_fp_ieee_underflow 0
		.amdhsa_exception_fp_ieee_inexact 0
		.amdhsa_exception_int_div_zero 0
	.end_amdhsa_kernel
	.section	.text._ZL19rocblas_scal_kernelIiLi256E16rocblas_bfloat16fPKfPS0_EviT3_lT4_lT_li,"axG",@progbits,_ZL19rocblas_scal_kernelIiLi256E16rocblas_bfloat16fPKfPS0_EviT3_lT4_lT_li,comdat
.Lfunc_end96:
	.size	_ZL19rocblas_scal_kernelIiLi256E16rocblas_bfloat16fPKfPS0_EviT3_lT4_lT_li, .Lfunc_end96-_ZL19rocblas_scal_kernelIiLi256E16rocblas_bfloat16fPKfPS0_EviT3_lT4_lT_li
                                        ; -- End function
	.set _ZL19rocblas_scal_kernelIiLi256E16rocblas_bfloat16fPKfPS0_EviT3_lT4_lT_li.num_vgpr, 5
	.set _ZL19rocblas_scal_kernelIiLi256E16rocblas_bfloat16fPKfPS0_EviT3_lT4_lT_li.num_agpr, 0
	.set _ZL19rocblas_scal_kernelIiLi256E16rocblas_bfloat16fPKfPS0_EviT3_lT4_lT_li.numbered_sgpr, 16
	.set _ZL19rocblas_scal_kernelIiLi256E16rocblas_bfloat16fPKfPS0_EviT3_lT4_lT_li.num_named_barrier, 0
	.set _ZL19rocblas_scal_kernelIiLi256E16rocblas_bfloat16fPKfPS0_EviT3_lT4_lT_li.private_seg_size, 0
	.set _ZL19rocblas_scal_kernelIiLi256E16rocblas_bfloat16fPKfPS0_EviT3_lT4_lT_li.uses_vcc, 1
	.set _ZL19rocblas_scal_kernelIiLi256E16rocblas_bfloat16fPKfPS0_EviT3_lT4_lT_li.uses_flat_scratch, 0
	.set _ZL19rocblas_scal_kernelIiLi256E16rocblas_bfloat16fPKfPS0_EviT3_lT4_lT_li.has_dyn_sized_stack, 0
	.set _ZL19rocblas_scal_kernelIiLi256E16rocblas_bfloat16fPKfPS0_EviT3_lT4_lT_li.has_recursion, 0
	.set _ZL19rocblas_scal_kernelIiLi256E16rocblas_bfloat16fPKfPS0_EviT3_lT4_lT_li.has_indirect_call, 0
	.section	.AMDGPU.csdata,"",@progbits
; Kernel info:
; codeLenInByte = 304
; TotalNumSgprs: 20
; NumVgprs: 5
; ScratchSize: 0
; MemoryBound: 0
; FloatMode: 240
; IeeeMode: 1
; LDSByteSize: 0 bytes/workgroup (compile time only)
; SGPRBlocks: 2
; VGPRBlocks: 1
; NumSGPRsForWavesPerEU: 20
; NumVGPRsForWavesPerEU: 5
; Occupancy: 10
; WaveLimiterHint : 0
; COMPUTE_PGM_RSRC2:SCRATCH_EN: 0
; COMPUTE_PGM_RSRC2:USER_SGPR: 6
; COMPUTE_PGM_RSRC2:TRAP_HANDLER: 0
; COMPUTE_PGM_RSRC2:TGID_X_EN: 1
; COMPUTE_PGM_RSRC2:TGID_Y_EN: 0
; COMPUTE_PGM_RSRC2:TGID_Z_EN: 1
; COMPUTE_PGM_RSRC2:TIDIG_COMP_CNT: 0
	.section	.text._ZL19rocblas_scal_kernelIiLi256E16rocblas_bfloat16ffPS0_EviT3_lT4_lT_li,"axG",@progbits,_ZL19rocblas_scal_kernelIiLi256E16rocblas_bfloat16ffPS0_EviT3_lT4_lT_li,comdat
	.globl	_ZL19rocblas_scal_kernelIiLi256E16rocblas_bfloat16ffPS0_EviT3_lT4_lT_li ; -- Begin function _ZL19rocblas_scal_kernelIiLi256E16rocblas_bfloat16ffPS0_EviT3_lT4_lT_li
	.p2align	8
	.type	_ZL19rocblas_scal_kernelIiLi256E16rocblas_bfloat16ffPS0_EviT3_lT4_lT_li,@function
_ZL19rocblas_scal_kernelIiLi256E16rocblas_bfloat16ffPS0_EviT3_lT4_lT_li: ; @_ZL19rocblas_scal_kernelIiLi256E16rocblas_bfloat16ffPS0_EviT3_lT4_lT_li
; %bb.0:
	s_load_dwordx2 s[0:1], s[4:5], 0x0
	v_lshl_or_b32 v0, s6, 8, v0
	s_waitcnt lgkmcnt(0)
	v_cmp_neq_f32_e64 s[2:3], s1, 1.0
	v_cmp_gt_u32_e32 vcc, s0, v0
	s_and_b64 s[2:3], vcc, s[2:3]
	s_and_saveexec_b64 s[8:9], s[2:3]
	s_cbranch_execz .LBB97_6
; %bb.1:
	s_load_dword s0, s[4:5], 0x20
	s_load_dwordx2 s[2:3], s[4:5], 0x28
	s_load_dwordx4 s[8:11], s[4:5], 0x10
	s_waitcnt lgkmcnt(0)
	s_ashr_i32 s6, s0, 31
	s_mul_i32 s3, s3, s7
	s_mul_hi_u32 s4, s2, s7
	s_add_i32 s3, s4, s3
	v_mad_u64_u32 v[1:2], s[4:5], s0, v0, 0
	s_mul_i32 s2, s2, s7
	s_lshl_b64 s[2:3], s[2:3], 1
	s_add_u32 s0, s8, s2
	s_addc_u32 s4, s9, s3
	v_mad_u64_u32 v[2:3], s[2:3], s6, v0, v[2:3]
	s_lshl_b64 s[2:3], s[10:11], 1
	s_add_u32 s0, s0, s2
	v_lshlrev_b64 v[0:1], 1, v[1:2]
	s_addc_u32 s2, s4, s3
	v_mov_b32_e32 v2, s2
	v_add_co_u32_e32 v0, vcc, s0, v0
	v_addc_co_u32_e32 v1, vcc, v2, v1, vcc
	global_load_ushort v2, v[0:1], off
	s_mov_b32 s0, 0x7f800000
	s_waitcnt vmcnt(0)
	v_lshlrev_b32_e32 v2, 16, v2
	v_mul_f32_e32 v2, s1, v2
	v_and_b32_e32 v3, 0x7f800000, v2
	v_cmp_ne_u32_e32 vcc, s0, v3
                                        ; implicit-def: $vgpr3
	s_and_saveexec_b64 s[0:1], vcc
	s_xor_b64 s[0:1], exec, s[0:1]
; %bb.2:
	v_bfe_u32 v3, v2, 16, 1
	s_movk_i32 s2, 0x7fff
	v_add3_u32 v3, v2, v3, s2
                                        ; implicit-def: $vgpr2
; %bb.3:
	s_andn2_saveexec_b64 s[0:1], s[0:1]
; %bb.4:
	v_mov_b32_e32 v3, 0
	v_or_b32_e32 v4, 0x10000, v2
	v_cmp_eq_u32_sdwa vcc, v2, v3 src0_sel:WORD_0 src1_sel:DWORD
	v_cndmask_b32_e32 v3, v4, v2, vcc
; %bb.5:
	s_or_b64 exec, exec, s[0:1]
	global_store_short_d16_hi v[0:1], v3, off
.LBB97_6:
	s_endpgm
	.section	.rodata,"a",@progbits
	.p2align	6, 0x0
	.amdhsa_kernel _ZL19rocblas_scal_kernelIiLi256E16rocblas_bfloat16ffPS0_EviT3_lT4_lT_li
		.amdhsa_group_segment_fixed_size 0
		.amdhsa_private_segment_fixed_size 0
		.amdhsa_kernarg_size 52
		.amdhsa_user_sgpr_count 6
		.amdhsa_user_sgpr_private_segment_buffer 1
		.amdhsa_user_sgpr_dispatch_ptr 0
		.amdhsa_user_sgpr_queue_ptr 0
		.amdhsa_user_sgpr_kernarg_segment_ptr 1
		.amdhsa_user_sgpr_dispatch_id 0
		.amdhsa_user_sgpr_flat_scratch_init 0
		.amdhsa_user_sgpr_private_segment_size 0
		.amdhsa_uses_dynamic_stack 0
		.amdhsa_system_sgpr_private_segment_wavefront_offset 0
		.amdhsa_system_sgpr_workgroup_id_x 1
		.amdhsa_system_sgpr_workgroup_id_y 0
		.amdhsa_system_sgpr_workgroup_id_z 1
		.amdhsa_system_sgpr_workgroup_info 0
		.amdhsa_system_vgpr_workitem_id 0
		.amdhsa_next_free_vgpr 5
		.amdhsa_next_free_sgpr 12
		.amdhsa_reserve_vcc 1
		.amdhsa_reserve_flat_scratch 0
		.amdhsa_float_round_mode_32 0
		.amdhsa_float_round_mode_16_64 0
		.amdhsa_float_denorm_mode_32 3
		.amdhsa_float_denorm_mode_16_64 3
		.amdhsa_dx10_clamp 1
		.amdhsa_ieee_mode 1
		.amdhsa_fp16_overflow 0
		.amdhsa_exception_fp_ieee_invalid_op 0
		.amdhsa_exception_fp_denorm_src 0
		.amdhsa_exception_fp_ieee_div_zero 0
		.amdhsa_exception_fp_ieee_overflow 0
		.amdhsa_exception_fp_ieee_underflow 0
		.amdhsa_exception_fp_ieee_inexact 0
		.amdhsa_exception_int_div_zero 0
	.end_amdhsa_kernel
	.section	.text._ZL19rocblas_scal_kernelIiLi256E16rocblas_bfloat16ffPS0_EviT3_lT4_lT_li,"axG",@progbits,_ZL19rocblas_scal_kernelIiLi256E16rocblas_bfloat16ffPS0_EviT3_lT4_lT_li,comdat
.Lfunc_end97:
	.size	_ZL19rocblas_scal_kernelIiLi256E16rocblas_bfloat16ffPS0_EviT3_lT4_lT_li, .Lfunc_end97-_ZL19rocblas_scal_kernelIiLi256E16rocblas_bfloat16ffPS0_EviT3_lT4_lT_li
                                        ; -- End function
	.set _ZL19rocblas_scal_kernelIiLi256E16rocblas_bfloat16ffPS0_EviT3_lT4_lT_li.num_vgpr, 5
	.set _ZL19rocblas_scal_kernelIiLi256E16rocblas_bfloat16ffPS0_EviT3_lT4_lT_li.num_agpr, 0
	.set _ZL19rocblas_scal_kernelIiLi256E16rocblas_bfloat16ffPS0_EviT3_lT4_lT_li.numbered_sgpr, 12
	.set _ZL19rocblas_scal_kernelIiLi256E16rocblas_bfloat16ffPS0_EviT3_lT4_lT_li.num_named_barrier, 0
	.set _ZL19rocblas_scal_kernelIiLi256E16rocblas_bfloat16ffPS0_EviT3_lT4_lT_li.private_seg_size, 0
	.set _ZL19rocblas_scal_kernelIiLi256E16rocblas_bfloat16ffPS0_EviT3_lT4_lT_li.uses_vcc, 1
	.set _ZL19rocblas_scal_kernelIiLi256E16rocblas_bfloat16ffPS0_EviT3_lT4_lT_li.uses_flat_scratch, 0
	.set _ZL19rocblas_scal_kernelIiLi256E16rocblas_bfloat16ffPS0_EviT3_lT4_lT_li.has_dyn_sized_stack, 0
	.set _ZL19rocblas_scal_kernelIiLi256E16rocblas_bfloat16ffPS0_EviT3_lT4_lT_li.has_recursion, 0
	.set _ZL19rocblas_scal_kernelIiLi256E16rocblas_bfloat16ffPS0_EviT3_lT4_lT_li.has_indirect_call, 0
	.section	.AMDGPU.csdata,"",@progbits
; Kernel info:
; codeLenInByte = 264
; TotalNumSgprs: 16
; NumVgprs: 5
; ScratchSize: 0
; MemoryBound: 0
; FloatMode: 240
; IeeeMode: 1
; LDSByteSize: 0 bytes/workgroup (compile time only)
; SGPRBlocks: 1
; VGPRBlocks: 1
; NumSGPRsForWavesPerEU: 16
; NumVGPRsForWavesPerEU: 5
; Occupancy: 10
; WaveLimiterHint : 0
; COMPUTE_PGM_RSRC2:SCRATCH_EN: 0
; COMPUTE_PGM_RSRC2:USER_SGPR: 6
; COMPUTE_PGM_RSRC2:TRAP_HANDLER: 0
; COMPUTE_PGM_RSRC2:TGID_X_EN: 1
; COMPUTE_PGM_RSRC2:TGID_Y_EN: 0
; COMPUTE_PGM_RSRC2:TGID_Z_EN: 1
; COMPUTE_PGM_RSRC2:TIDIG_COMP_CNT: 0
	.section	.text._ZL19rocblas_scal_kernelIlLi256E16rocblas_bfloat16fPKfPS0_EviT3_lT4_lT_li,"axG",@progbits,_ZL19rocblas_scal_kernelIlLi256E16rocblas_bfloat16fPKfPS0_EviT3_lT4_lT_li,comdat
	.globl	_ZL19rocblas_scal_kernelIlLi256E16rocblas_bfloat16fPKfPS0_EviT3_lT4_lT_li ; -- Begin function _ZL19rocblas_scal_kernelIlLi256E16rocblas_bfloat16fPKfPS0_EviT3_lT4_lT_li
	.p2align	8
	.type	_ZL19rocblas_scal_kernelIlLi256E16rocblas_bfloat16fPKfPS0_EviT3_lT4_lT_li,@function
_ZL19rocblas_scal_kernelIlLi256E16rocblas_bfloat16fPKfPS0_EviT3_lT4_lT_li: ; @_ZL19rocblas_scal_kernelIlLi256E16rocblas_bfloat16fPKfPS0_EviT3_lT4_lT_li
; %bb.0:
	s_load_dwordx8 s[8:15], s[4:5], 0x8
	v_lshl_or_b32 v0, s6, 8, v0
	s_waitcnt lgkmcnt(0)
	s_mul_i32 s0, s11, s7
	s_mul_hi_u32 s1, s10, s7
	s_add_i32 s1, s1, s0
	s_mul_i32 s0, s10, s7
	s_lshl_b64 s[0:1], s[0:1], 2
	s_add_u32 s2, s8, s0
	s_addc_u32 s3, s9, s1
	s_load_dword s0, s[2:3], 0x0
	s_load_dword s1, s[4:5], 0x0
	s_waitcnt lgkmcnt(0)
	v_cmp_neq_f32_e64 s[2:3], s0, 1.0
	v_cmp_gt_u32_e32 vcc, s1, v0
	s_and_b64 s[2:3], vcc, s[2:3]
	s_and_saveexec_b64 s[8:9], s[2:3]
	s_cbranch_execz .LBB98_6
; %bb.1:
	s_load_dwordx4 s[8:11], s[4:5], 0x28
	s_waitcnt lgkmcnt(0)
	s_mul_i32 s1, s11, s7
	s_mul_hi_u32 s3, s10, s7
	v_mad_u64_u32 v[1:2], s[4:5], s8, v0, 0
	s_mul_i32 s2, s10, s7
	s_add_i32 s3, s3, s1
	s_lshl_b64 s[2:3], s[2:3], 1
	s_add_u32 s1, s12, s2
	s_addc_u32 s4, s13, s3
	v_mad_u64_u32 v[2:3], s[2:3], s9, v0, v[2:3]
	s_lshl_b64 s[2:3], s[14:15], 1
	s_add_u32 s1, s1, s2
	v_lshlrev_b64 v[0:1], 1, v[1:2]
	s_addc_u32 s2, s4, s3
	v_mov_b32_e32 v2, s2
	v_add_co_u32_e32 v0, vcc, s1, v0
	v_addc_co_u32_e32 v1, vcc, v2, v1, vcc
	global_load_ushort v2, v[0:1], off
	s_waitcnt vmcnt(0)
	v_lshlrev_b32_e32 v2, 16, v2
	v_mul_f32_e32 v2, s0, v2
	s_mov_b32 s0, 0x7f800000
	v_and_b32_e32 v3, 0x7f800000, v2
	v_cmp_ne_u32_e32 vcc, s0, v3
                                        ; implicit-def: $vgpr3
	s_and_saveexec_b64 s[0:1], vcc
	s_xor_b64 s[0:1], exec, s[0:1]
; %bb.2:
	v_bfe_u32 v3, v2, 16, 1
	s_movk_i32 s2, 0x7fff
	v_add3_u32 v3, v2, v3, s2
                                        ; implicit-def: $vgpr2
; %bb.3:
	s_andn2_saveexec_b64 s[0:1], s[0:1]
; %bb.4:
	v_mov_b32_e32 v3, 0
	v_or_b32_e32 v4, 0x10000, v2
	v_cmp_eq_u32_sdwa vcc, v2, v3 src0_sel:WORD_0 src1_sel:DWORD
	v_cndmask_b32_e32 v3, v4, v2, vcc
; %bb.5:
	s_or_b64 exec, exec, s[0:1]
	global_store_short_d16_hi v[0:1], v3, off
.LBB98_6:
	s_endpgm
	.section	.rodata,"a",@progbits
	.p2align	6, 0x0
	.amdhsa_kernel _ZL19rocblas_scal_kernelIlLi256E16rocblas_bfloat16fPKfPS0_EviT3_lT4_lT_li
		.amdhsa_group_segment_fixed_size 0
		.amdhsa_private_segment_fixed_size 0
		.amdhsa_kernarg_size 60
		.amdhsa_user_sgpr_count 6
		.amdhsa_user_sgpr_private_segment_buffer 1
		.amdhsa_user_sgpr_dispatch_ptr 0
		.amdhsa_user_sgpr_queue_ptr 0
		.amdhsa_user_sgpr_kernarg_segment_ptr 1
		.amdhsa_user_sgpr_dispatch_id 0
		.amdhsa_user_sgpr_flat_scratch_init 0
		.amdhsa_user_sgpr_private_segment_size 0
		.amdhsa_uses_dynamic_stack 0
		.amdhsa_system_sgpr_private_segment_wavefront_offset 0
		.amdhsa_system_sgpr_workgroup_id_x 1
		.amdhsa_system_sgpr_workgroup_id_y 0
		.amdhsa_system_sgpr_workgroup_id_z 1
		.amdhsa_system_sgpr_workgroup_info 0
		.amdhsa_system_vgpr_workitem_id 0
		.amdhsa_next_free_vgpr 5
		.amdhsa_next_free_sgpr 16
		.amdhsa_reserve_vcc 1
		.amdhsa_reserve_flat_scratch 0
		.amdhsa_float_round_mode_32 0
		.amdhsa_float_round_mode_16_64 0
		.amdhsa_float_denorm_mode_32 3
		.amdhsa_float_denorm_mode_16_64 3
		.amdhsa_dx10_clamp 1
		.amdhsa_ieee_mode 1
		.amdhsa_fp16_overflow 0
		.amdhsa_exception_fp_ieee_invalid_op 0
		.amdhsa_exception_fp_denorm_src 0
		.amdhsa_exception_fp_ieee_div_zero 0
		.amdhsa_exception_fp_ieee_overflow 0
		.amdhsa_exception_fp_ieee_underflow 0
		.amdhsa_exception_fp_ieee_inexact 0
		.amdhsa_exception_int_div_zero 0
	.end_amdhsa_kernel
	.section	.text._ZL19rocblas_scal_kernelIlLi256E16rocblas_bfloat16fPKfPS0_EviT3_lT4_lT_li,"axG",@progbits,_ZL19rocblas_scal_kernelIlLi256E16rocblas_bfloat16fPKfPS0_EviT3_lT4_lT_li,comdat
.Lfunc_end98:
	.size	_ZL19rocblas_scal_kernelIlLi256E16rocblas_bfloat16fPKfPS0_EviT3_lT4_lT_li, .Lfunc_end98-_ZL19rocblas_scal_kernelIlLi256E16rocblas_bfloat16fPKfPS0_EviT3_lT4_lT_li
                                        ; -- End function
	.set _ZL19rocblas_scal_kernelIlLi256E16rocblas_bfloat16fPKfPS0_EviT3_lT4_lT_li.num_vgpr, 5
	.set _ZL19rocblas_scal_kernelIlLi256E16rocblas_bfloat16fPKfPS0_EviT3_lT4_lT_li.num_agpr, 0
	.set _ZL19rocblas_scal_kernelIlLi256E16rocblas_bfloat16fPKfPS0_EviT3_lT4_lT_li.numbered_sgpr, 16
	.set _ZL19rocblas_scal_kernelIlLi256E16rocblas_bfloat16fPKfPS0_EviT3_lT4_lT_li.num_named_barrier, 0
	.set _ZL19rocblas_scal_kernelIlLi256E16rocblas_bfloat16fPKfPS0_EviT3_lT4_lT_li.private_seg_size, 0
	.set _ZL19rocblas_scal_kernelIlLi256E16rocblas_bfloat16fPKfPS0_EviT3_lT4_lT_li.uses_vcc, 1
	.set _ZL19rocblas_scal_kernelIlLi256E16rocblas_bfloat16fPKfPS0_EviT3_lT4_lT_li.uses_flat_scratch, 0
	.set _ZL19rocblas_scal_kernelIlLi256E16rocblas_bfloat16fPKfPS0_EviT3_lT4_lT_li.has_dyn_sized_stack, 0
	.set _ZL19rocblas_scal_kernelIlLi256E16rocblas_bfloat16fPKfPS0_EviT3_lT4_lT_li.has_recursion, 0
	.set _ZL19rocblas_scal_kernelIlLi256E16rocblas_bfloat16fPKfPS0_EviT3_lT4_lT_li.has_indirect_call, 0
	.section	.AMDGPU.csdata,"",@progbits
; Kernel info:
; codeLenInByte = 292
; TotalNumSgprs: 20
; NumVgprs: 5
; ScratchSize: 0
; MemoryBound: 0
; FloatMode: 240
; IeeeMode: 1
; LDSByteSize: 0 bytes/workgroup (compile time only)
; SGPRBlocks: 2
; VGPRBlocks: 1
; NumSGPRsForWavesPerEU: 20
; NumVGPRsForWavesPerEU: 5
; Occupancy: 10
; WaveLimiterHint : 0
; COMPUTE_PGM_RSRC2:SCRATCH_EN: 0
; COMPUTE_PGM_RSRC2:USER_SGPR: 6
; COMPUTE_PGM_RSRC2:TRAP_HANDLER: 0
; COMPUTE_PGM_RSRC2:TGID_X_EN: 1
; COMPUTE_PGM_RSRC2:TGID_Y_EN: 0
; COMPUTE_PGM_RSRC2:TGID_Z_EN: 1
; COMPUTE_PGM_RSRC2:TIDIG_COMP_CNT: 0
	.section	.text._ZL19rocblas_scal_kernelIlLi256E16rocblas_bfloat16ffPS0_EviT3_lT4_lT_li,"axG",@progbits,_ZL19rocblas_scal_kernelIlLi256E16rocblas_bfloat16ffPS0_EviT3_lT4_lT_li,comdat
	.globl	_ZL19rocblas_scal_kernelIlLi256E16rocblas_bfloat16ffPS0_EviT3_lT4_lT_li ; -- Begin function _ZL19rocblas_scal_kernelIlLi256E16rocblas_bfloat16ffPS0_EviT3_lT4_lT_li
	.p2align	8
	.type	_ZL19rocblas_scal_kernelIlLi256E16rocblas_bfloat16ffPS0_EviT3_lT4_lT_li,@function
_ZL19rocblas_scal_kernelIlLi256E16rocblas_bfloat16ffPS0_EviT3_lT4_lT_li: ; @_ZL19rocblas_scal_kernelIlLi256E16rocblas_bfloat16ffPS0_EviT3_lT4_lT_li
; %bb.0:
	s_load_dwordx2 s[0:1], s[4:5], 0x0
	v_lshl_or_b32 v0, s6, 8, v0
	s_waitcnt lgkmcnt(0)
	v_cmp_neq_f32_e64 s[2:3], s1, 1.0
	v_cmp_gt_u32_e32 vcc, s0, v0
	s_and_b64 s[2:3], vcc, s[2:3]
	s_and_saveexec_b64 s[8:9], s[2:3]
	s_cbranch_execz .LBB99_6
; %bb.1:
	s_load_dwordx8 s[8:15], s[4:5], 0x10
	s_waitcnt lgkmcnt(0)
	s_mul_i32 s0, s15, s7
	s_mul_hi_u32 s3, s14, s7
	v_mad_u64_u32 v[1:2], s[4:5], s12, v0, 0
	s_mul_i32 s2, s14, s7
	s_add_i32 s3, s3, s0
	s_lshl_b64 s[2:3], s[2:3], 1
	s_add_u32 s0, s8, s2
	s_addc_u32 s4, s9, s3
	v_mad_u64_u32 v[2:3], s[2:3], s13, v0, v[2:3]
	s_lshl_b64 s[2:3], s[10:11], 1
	s_add_u32 s0, s0, s2
	v_lshlrev_b64 v[0:1], 1, v[1:2]
	s_addc_u32 s2, s4, s3
	v_mov_b32_e32 v2, s2
	v_add_co_u32_e32 v0, vcc, s0, v0
	v_addc_co_u32_e32 v1, vcc, v2, v1, vcc
	global_load_ushort v2, v[0:1], off
	s_mov_b32 s0, 0x7f800000
	s_waitcnt vmcnt(0)
	v_lshlrev_b32_e32 v2, 16, v2
	v_mul_f32_e32 v2, s1, v2
	v_and_b32_e32 v3, 0x7f800000, v2
	v_cmp_ne_u32_e32 vcc, s0, v3
                                        ; implicit-def: $vgpr3
	s_and_saveexec_b64 s[0:1], vcc
	s_xor_b64 s[0:1], exec, s[0:1]
; %bb.2:
	v_bfe_u32 v3, v2, 16, 1
	s_movk_i32 s2, 0x7fff
	v_add3_u32 v3, v2, v3, s2
                                        ; implicit-def: $vgpr2
; %bb.3:
	s_andn2_saveexec_b64 s[0:1], s[0:1]
; %bb.4:
	v_mov_b32_e32 v3, 0
	v_or_b32_e32 v4, 0x10000, v2
	v_cmp_eq_u32_sdwa vcc, v2, v3 src0_sel:WORD_0 src1_sel:DWORD
	v_cndmask_b32_e32 v3, v4, v2, vcc
; %bb.5:
	s_or_b64 exec, exec, s[0:1]
	global_store_short_d16_hi v[0:1], v3, off
.LBB99_6:
	s_endpgm
	.section	.rodata,"a",@progbits
	.p2align	6, 0x0
	.amdhsa_kernel _ZL19rocblas_scal_kernelIlLi256E16rocblas_bfloat16ffPS0_EviT3_lT4_lT_li
		.amdhsa_group_segment_fixed_size 0
		.amdhsa_private_segment_fixed_size 0
		.amdhsa_kernarg_size 52
		.amdhsa_user_sgpr_count 6
		.amdhsa_user_sgpr_private_segment_buffer 1
		.amdhsa_user_sgpr_dispatch_ptr 0
		.amdhsa_user_sgpr_queue_ptr 0
		.amdhsa_user_sgpr_kernarg_segment_ptr 1
		.amdhsa_user_sgpr_dispatch_id 0
		.amdhsa_user_sgpr_flat_scratch_init 0
		.amdhsa_user_sgpr_private_segment_size 0
		.amdhsa_uses_dynamic_stack 0
		.amdhsa_system_sgpr_private_segment_wavefront_offset 0
		.amdhsa_system_sgpr_workgroup_id_x 1
		.amdhsa_system_sgpr_workgroup_id_y 0
		.amdhsa_system_sgpr_workgroup_id_z 1
		.amdhsa_system_sgpr_workgroup_info 0
		.amdhsa_system_vgpr_workitem_id 0
		.amdhsa_next_free_vgpr 5
		.amdhsa_next_free_sgpr 16
		.amdhsa_reserve_vcc 1
		.amdhsa_reserve_flat_scratch 0
		.amdhsa_float_round_mode_32 0
		.amdhsa_float_round_mode_16_64 0
		.amdhsa_float_denorm_mode_32 3
		.amdhsa_float_denorm_mode_16_64 3
		.amdhsa_dx10_clamp 1
		.amdhsa_ieee_mode 1
		.amdhsa_fp16_overflow 0
		.amdhsa_exception_fp_ieee_invalid_op 0
		.amdhsa_exception_fp_denorm_src 0
		.amdhsa_exception_fp_ieee_div_zero 0
		.amdhsa_exception_fp_ieee_overflow 0
		.amdhsa_exception_fp_ieee_underflow 0
		.amdhsa_exception_fp_ieee_inexact 0
		.amdhsa_exception_int_div_zero 0
	.end_amdhsa_kernel
	.section	.text._ZL19rocblas_scal_kernelIlLi256E16rocblas_bfloat16ffPS0_EviT3_lT4_lT_li,"axG",@progbits,_ZL19rocblas_scal_kernelIlLi256E16rocblas_bfloat16ffPS0_EviT3_lT4_lT_li,comdat
.Lfunc_end99:
	.size	_ZL19rocblas_scal_kernelIlLi256E16rocblas_bfloat16ffPS0_EviT3_lT4_lT_li, .Lfunc_end99-_ZL19rocblas_scal_kernelIlLi256E16rocblas_bfloat16ffPS0_EviT3_lT4_lT_li
                                        ; -- End function
	.set _ZL19rocblas_scal_kernelIlLi256E16rocblas_bfloat16ffPS0_EviT3_lT4_lT_li.num_vgpr, 5
	.set _ZL19rocblas_scal_kernelIlLi256E16rocblas_bfloat16ffPS0_EviT3_lT4_lT_li.num_agpr, 0
	.set _ZL19rocblas_scal_kernelIlLi256E16rocblas_bfloat16ffPS0_EviT3_lT4_lT_li.numbered_sgpr, 16
	.set _ZL19rocblas_scal_kernelIlLi256E16rocblas_bfloat16ffPS0_EviT3_lT4_lT_li.num_named_barrier, 0
	.set _ZL19rocblas_scal_kernelIlLi256E16rocblas_bfloat16ffPS0_EviT3_lT4_lT_li.private_seg_size, 0
	.set _ZL19rocblas_scal_kernelIlLi256E16rocblas_bfloat16ffPS0_EviT3_lT4_lT_li.uses_vcc, 1
	.set _ZL19rocblas_scal_kernelIlLi256E16rocblas_bfloat16ffPS0_EviT3_lT4_lT_li.uses_flat_scratch, 0
	.set _ZL19rocblas_scal_kernelIlLi256E16rocblas_bfloat16ffPS0_EviT3_lT4_lT_li.has_dyn_sized_stack, 0
	.set _ZL19rocblas_scal_kernelIlLi256E16rocblas_bfloat16ffPS0_EviT3_lT4_lT_li.has_recursion, 0
	.set _ZL19rocblas_scal_kernelIlLi256E16rocblas_bfloat16ffPS0_EviT3_lT4_lT_li.has_indirect_call, 0
	.section	.AMDGPU.csdata,"",@progbits
; Kernel info:
; codeLenInByte = 244
; TotalNumSgprs: 20
; NumVgprs: 5
; ScratchSize: 0
; MemoryBound: 0
; FloatMode: 240
; IeeeMode: 1
; LDSByteSize: 0 bytes/workgroup (compile time only)
; SGPRBlocks: 2
; VGPRBlocks: 1
; NumSGPRsForWavesPerEU: 20
; NumVGPRsForWavesPerEU: 5
; Occupancy: 10
; WaveLimiterHint : 0
; COMPUTE_PGM_RSRC2:SCRATCH_EN: 0
; COMPUTE_PGM_RSRC2:USER_SGPR: 6
; COMPUTE_PGM_RSRC2:TRAP_HANDLER: 0
; COMPUTE_PGM_RSRC2:TGID_X_EN: 1
; COMPUTE_PGM_RSRC2:TGID_Y_EN: 0
; COMPUTE_PGM_RSRC2:TGID_Z_EN: 1
; COMPUTE_PGM_RSRC2:TIDIG_COMP_CNT: 0
	.section	.text._ZL22rocblas_sscal_2_kernelILi256EDF16_fPKDF16_PKPDF16_EviT2_lT3_lli,"axG",@progbits,_ZL22rocblas_sscal_2_kernelILi256EDF16_fPKDF16_PKPDF16_EviT2_lT3_lli,comdat
	.globl	_ZL22rocblas_sscal_2_kernelILi256EDF16_fPKDF16_PKPDF16_EviT2_lT3_lli ; -- Begin function _ZL22rocblas_sscal_2_kernelILi256EDF16_fPKDF16_PKPDF16_EviT2_lT3_lli
	.p2align	8
	.type	_ZL22rocblas_sscal_2_kernelILi256EDF16_fPKDF16_PKPDF16_EviT2_lT3_lli,@function
_ZL22rocblas_sscal_2_kernelILi256EDF16_fPKDF16_PKPDF16_EviT2_lT3_lli: ; @_ZL22rocblas_sscal_2_kernelILi256EDF16_fPKDF16_PKPDF16_EviT2_lT3_lli
; %bb.0:
	s_load_dwordx4 s[8:11], s[4:5], 0x8
	v_mov_b32_e32 v1, 0
	s_waitcnt lgkmcnt(0)
	s_mul_i32 s1, s11, s7
	s_mul_hi_u32 s2, s10, s7
	s_add_i32 s3, s2, s1
	s_mul_i32 s2, s10, s7
	s_lshl_b64 s[2:3], s[2:3], 1
	s_add_u32 s2, s8, s2
	s_addc_u32 s3, s9, s3
	global_load_ushort v2, v1, s[2:3]
	s_waitcnt vmcnt(0)
	v_cmp_eq_f16_e32 vcc, 1.0, v2
	s_cbranch_vccnz .LBB100_5
; %bb.1:
	s_load_dwordx4 s[8:11], s[4:5], 0x18
	s_load_dword s2, s[4:5], 0x0
	s_mov_b32 s0, s7
	s_mov_b32 s1, 0
	s_lshl_b64 s[0:1], s[0:1], 3
	s_waitcnt lgkmcnt(0)
	s_add_u32 s0, s8, s0
	s_addc_u32 s1, s9, s1
	s_load_dwordx2 s[0:1], s[0:1], 0x0
	v_lshlrev_b32_e32 v0, 1, v0
	v_lshl_or_b32 v0, s6, 9, v0
	s_lshl_b64 s[4:5], s[10:11], 1
	v_or_b32_e32 v1, 1, v0
	s_waitcnt lgkmcnt(0)
	s_add_u32 s3, s0, s4
	s_addc_u32 s4, s1, s5
	v_cmp_gt_u32_e32 vcc, s2, v1
	s_and_saveexec_b64 s[0:1], vcc
	s_cbranch_execz .LBB100_3
; %bb.2:
	v_mov_b32_e32 v1, 0
	v_lshlrev_b64 v[3:4], 1, v[0:1]
	v_mov_b32_e32 v1, s4
	v_add_co_u32_e32 v3, vcc, s3, v3
	v_addc_co_u32_e32 v4, vcc, v1, v4, vcc
	flat_load_dword v1, v[3:4]
	s_waitcnt vmcnt(0) lgkmcnt(0)
	v_pk_mul_f16 v1, v2, v1 op_sel_hi:[0,1]
	flat_store_dword v[3:4], v1
.LBB100_3:
	s_or_b64 exec, exec, s[0:1]
	s_bitcmp1_b32 s2, 0
	s_cselect_b64 s[0:1], -1, 0
	s_add_i32 s2, s2, -1
	v_cmp_eq_u32_e32 vcc, s2, v0
	s_and_b64 s[0:1], s[0:1], vcc
	s_and_saveexec_b64 s[6:7], s[0:1]
	s_cbranch_execz .LBB100_5
; %bb.4:
	v_mov_b32_e32 v1, 0
	v_lshlrev_b64 v[0:1], 1, v[0:1]
	v_mov_b32_e32 v3, s4
	v_add_co_u32_e32 v0, vcc, s3, v0
	v_addc_co_u32_e32 v1, vcc, v3, v1, vcc
	flat_load_ushort v3, v[0:1]
	s_waitcnt vmcnt(0) lgkmcnt(0)
	v_mul_f16_e32 v2, v2, v3
	flat_store_short v[0:1], v2
.LBB100_5:
	s_endpgm
	.section	.rodata,"a",@progbits
	.p2align	6, 0x0
	.amdhsa_kernel _ZL22rocblas_sscal_2_kernelILi256EDF16_fPKDF16_PKPDF16_EviT2_lT3_lli
		.amdhsa_group_segment_fixed_size 0
		.amdhsa_private_segment_fixed_size 0
		.amdhsa_kernarg_size 52
		.amdhsa_user_sgpr_count 6
		.amdhsa_user_sgpr_private_segment_buffer 1
		.amdhsa_user_sgpr_dispatch_ptr 0
		.amdhsa_user_sgpr_queue_ptr 0
		.amdhsa_user_sgpr_kernarg_segment_ptr 1
		.amdhsa_user_sgpr_dispatch_id 0
		.amdhsa_user_sgpr_flat_scratch_init 0
		.amdhsa_user_sgpr_private_segment_size 0
		.amdhsa_uses_dynamic_stack 0
		.amdhsa_system_sgpr_private_segment_wavefront_offset 0
		.amdhsa_system_sgpr_workgroup_id_x 1
		.amdhsa_system_sgpr_workgroup_id_y 0
		.amdhsa_system_sgpr_workgroup_id_z 1
		.amdhsa_system_sgpr_workgroup_info 0
		.amdhsa_system_vgpr_workitem_id 0
		.amdhsa_next_free_vgpr 5
		.amdhsa_next_free_sgpr 12
		.amdhsa_reserve_vcc 1
		.amdhsa_reserve_flat_scratch 0
		.amdhsa_float_round_mode_32 0
		.amdhsa_float_round_mode_16_64 0
		.amdhsa_float_denorm_mode_32 3
		.amdhsa_float_denorm_mode_16_64 3
		.amdhsa_dx10_clamp 1
		.amdhsa_ieee_mode 1
		.amdhsa_fp16_overflow 0
		.amdhsa_exception_fp_ieee_invalid_op 0
		.amdhsa_exception_fp_denorm_src 0
		.amdhsa_exception_fp_ieee_div_zero 0
		.amdhsa_exception_fp_ieee_overflow 0
		.amdhsa_exception_fp_ieee_underflow 0
		.amdhsa_exception_fp_ieee_inexact 0
		.amdhsa_exception_int_div_zero 0
	.end_amdhsa_kernel
	.section	.text._ZL22rocblas_sscal_2_kernelILi256EDF16_fPKDF16_PKPDF16_EviT2_lT3_lli,"axG",@progbits,_ZL22rocblas_sscal_2_kernelILi256EDF16_fPKDF16_PKPDF16_EviT2_lT3_lli,comdat
.Lfunc_end100:
	.size	_ZL22rocblas_sscal_2_kernelILi256EDF16_fPKDF16_PKPDF16_EviT2_lT3_lli, .Lfunc_end100-_ZL22rocblas_sscal_2_kernelILi256EDF16_fPKDF16_PKPDF16_EviT2_lT3_lli
                                        ; -- End function
	.set _ZL22rocblas_sscal_2_kernelILi256EDF16_fPKDF16_PKPDF16_EviT2_lT3_lli.num_vgpr, 5
	.set _ZL22rocblas_sscal_2_kernelILi256EDF16_fPKDF16_PKPDF16_EviT2_lT3_lli.num_agpr, 0
	.set _ZL22rocblas_sscal_2_kernelILi256EDF16_fPKDF16_PKPDF16_EviT2_lT3_lli.numbered_sgpr, 12
	.set _ZL22rocblas_sscal_2_kernelILi256EDF16_fPKDF16_PKPDF16_EviT2_lT3_lli.num_named_barrier, 0
	.set _ZL22rocblas_sscal_2_kernelILi256EDF16_fPKDF16_PKPDF16_EviT2_lT3_lli.private_seg_size, 0
	.set _ZL22rocblas_sscal_2_kernelILi256EDF16_fPKDF16_PKPDF16_EviT2_lT3_lli.uses_vcc, 1
	.set _ZL22rocblas_sscal_2_kernelILi256EDF16_fPKDF16_PKPDF16_EviT2_lT3_lli.uses_flat_scratch, 0
	.set _ZL22rocblas_sscal_2_kernelILi256EDF16_fPKDF16_PKPDF16_EviT2_lT3_lli.has_dyn_sized_stack, 0
	.set _ZL22rocblas_sscal_2_kernelILi256EDF16_fPKDF16_PKPDF16_EviT2_lT3_lli.has_recursion, 0
	.set _ZL22rocblas_sscal_2_kernelILi256EDF16_fPKDF16_PKPDF16_EviT2_lT3_lli.has_indirect_call, 0
	.section	.AMDGPU.csdata,"",@progbits
; Kernel info:
; codeLenInByte = 292
; TotalNumSgprs: 16
; NumVgprs: 5
; ScratchSize: 0
; MemoryBound: 0
; FloatMode: 240
; IeeeMode: 1
; LDSByteSize: 0 bytes/workgroup (compile time only)
; SGPRBlocks: 1
; VGPRBlocks: 1
; NumSGPRsForWavesPerEU: 16
; NumVGPRsForWavesPerEU: 5
; Occupancy: 10
; WaveLimiterHint : 1
; COMPUTE_PGM_RSRC2:SCRATCH_EN: 0
; COMPUTE_PGM_RSRC2:USER_SGPR: 6
; COMPUTE_PGM_RSRC2:TRAP_HANDLER: 0
; COMPUTE_PGM_RSRC2:TGID_X_EN: 1
; COMPUTE_PGM_RSRC2:TGID_Y_EN: 0
; COMPUTE_PGM_RSRC2:TGID_Z_EN: 1
; COMPUTE_PGM_RSRC2:TIDIG_COMP_CNT: 0
	.section	.text._ZL22rocblas_sscal_2_kernelILi256EDF16_fDF16_PKPDF16_EviT2_lT3_lli,"axG",@progbits,_ZL22rocblas_sscal_2_kernelILi256EDF16_fDF16_PKPDF16_EviT2_lT3_lli,comdat
	.globl	_ZL22rocblas_sscal_2_kernelILi256EDF16_fDF16_PKPDF16_EviT2_lT3_lli ; -- Begin function _ZL22rocblas_sscal_2_kernelILi256EDF16_fDF16_PKPDF16_EviT2_lT3_lli
	.p2align	8
	.type	_ZL22rocblas_sscal_2_kernelILi256EDF16_fDF16_PKPDF16_EviT2_lT3_lli,@function
_ZL22rocblas_sscal_2_kernelILi256EDF16_fDF16_PKPDF16_EviT2_lT3_lli: ; @_ZL22rocblas_sscal_2_kernelILi256EDF16_fDF16_PKPDF16_EviT2_lT3_lli
; %bb.0:
	s_load_dwordx2 s[0:1], s[4:5], 0x0
	s_waitcnt lgkmcnt(0)
	v_cmp_eq_f16_e64 s[8:9], s1, 1.0
	s_and_b64 vcc, exec, s[8:9]
	s_cbranch_vccnz .LBB101_5
; %bb.1:
	s_load_dwordx4 s[8:11], s[4:5], 0x10
	s_mov_b32 s2, s7
	s_mov_b32 s3, 0
	s_lshl_b64 s[2:3], s[2:3], 3
	v_lshlrev_b32_e32 v0, 1, v0
	s_waitcnt lgkmcnt(0)
	s_add_u32 s2, s8, s2
	s_addc_u32 s3, s9, s3
	s_load_dwordx2 s[2:3], s[2:3], 0x0
	v_lshl_or_b32 v0, s6, 9, v0
	s_lshl_b64 s[4:5], s[10:11], 1
	v_or_b32_e32 v1, 1, v0
	v_cmp_gt_u32_e32 vcc, s0, v1
	s_waitcnt lgkmcnt(0)
	s_add_u32 s4, s2, s4
	s_addc_u32 s5, s3, s5
	s_and_saveexec_b64 s[2:3], vcc
	s_cbranch_execz .LBB101_3
; %bb.2:
	v_mov_b32_e32 v1, 0
	v_lshlrev_b64 v[1:2], 1, v[0:1]
	v_mov_b32_e32 v3, s5
	v_add_co_u32_e32 v1, vcc, s4, v1
	v_addc_co_u32_e32 v2, vcc, v3, v2, vcc
	flat_load_dword v3, v[1:2]
	s_waitcnt vmcnt(0) lgkmcnt(0)
	v_pk_mul_f16 v3, s1, v3 op_sel_hi:[0,1]
	flat_store_dword v[1:2], v3
.LBB101_3:
	s_or_b64 exec, exec, s[2:3]
	s_bitcmp1_b32 s0, 0
	s_cselect_b64 s[2:3], -1, 0
	s_add_i32 s0, s0, -1
	v_cmp_eq_u32_e32 vcc, s0, v0
	s_and_b64 s[2:3], s[2:3], vcc
	s_and_saveexec_b64 s[6:7], s[2:3]
	s_cbranch_execz .LBB101_5
; %bb.4:
	v_mov_b32_e32 v1, 0
	v_lshlrev_b64 v[0:1], 1, v[0:1]
	v_mov_b32_e32 v2, s5
	v_add_co_u32_e32 v0, vcc, s4, v0
	v_addc_co_u32_e32 v1, vcc, v2, v1, vcc
	flat_load_ushort v2, v[0:1]
	s_waitcnt vmcnt(0) lgkmcnt(0)
	v_mul_f16_e32 v2, s1, v2
	flat_store_short v[0:1], v2
.LBB101_5:
	s_endpgm
	.section	.rodata,"a",@progbits
	.p2align	6, 0x0
	.amdhsa_kernel _ZL22rocblas_sscal_2_kernelILi256EDF16_fDF16_PKPDF16_EviT2_lT3_lli
		.amdhsa_group_segment_fixed_size 0
		.amdhsa_private_segment_fixed_size 0
		.amdhsa_kernarg_size 44
		.amdhsa_user_sgpr_count 6
		.amdhsa_user_sgpr_private_segment_buffer 1
		.amdhsa_user_sgpr_dispatch_ptr 0
		.amdhsa_user_sgpr_queue_ptr 0
		.amdhsa_user_sgpr_kernarg_segment_ptr 1
		.amdhsa_user_sgpr_dispatch_id 0
		.amdhsa_user_sgpr_flat_scratch_init 0
		.amdhsa_user_sgpr_private_segment_size 0
		.amdhsa_uses_dynamic_stack 0
		.amdhsa_system_sgpr_private_segment_wavefront_offset 0
		.amdhsa_system_sgpr_workgroup_id_x 1
		.amdhsa_system_sgpr_workgroup_id_y 0
		.amdhsa_system_sgpr_workgroup_id_z 1
		.amdhsa_system_sgpr_workgroup_info 0
		.amdhsa_system_vgpr_workitem_id 0
		.amdhsa_next_free_vgpr 4
		.amdhsa_next_free_sgpr 12
		.amdhsa_reserve_vcc 1
		.amdhsa_reserve_flat_scratch 0
		.amdhsa_float_round_mode_32 0
		.amdhsa_float_round_mode_16_64 0
		.amdhsa_float_denorm_mode_32 3
		.amdhsa_float_denorm_mode_16_64 3
		.amdhsa_dx10_clamp 1
		.amdhsa_ieee_mode 1
		.amdhsa_fp16_overflow 0
		.amdhsa_exception_fp_ieee_invalid_op 0
		.amdhsa_exception_fp_denorm_src 0
		.amdhsa_exception_fp_ieee_div_zero 0
		.amdhsa_exception_fp_ieee_overflow 0
		.amdhsa_exception_fp_ieee_underflow 0
		.amdhsa_exception_fp_ieee_inexact 0
		.amdhsa_exception_int_div_zero 0
	.end_amdhsa_kernel
	.section	.text._ZL22rocblas_sscal_2_kernelILi256EDF16_fDF16_PKPDF16_EviT2_lT3_lli,"axG",@progbits,_ZL22rocblas_sscal_2_kernelILi256EDF16_fDF16_PKPDF16_EviT2_lT3_lli,comdat
.Lfunc_end101:
	.size	_ZL22rocblas_sscal_2_kernelILi256EDF16_fDF16_PKPDF16_EviT2_lT3_lli, .Lfunc_end101-_ZL22rocblas_sscal_2_kernelILi256EDF16_fDF16_PKPDF16_EviT2_lT3_lli
                                        ; -- End function
	.set _ZL22rocblas_sscal_2_kernelILi256EDF16_fDF16_PKPDF16_EviT2_lT3_lli.num_vgpr, 4
	.set _ZL22rocblas_sscal_2_kernelILi256EDF16_fDF16_PKPDF16_EviT2_lT3_lli.num_agpr, 0
	.set _ZL22rocblas_sscal_2_kernelILi256EDF16_fDF16_PKPDF16_EviT2_lT3_lli.numbered_sgpr, 12
	.set _ZL22rocblas_sscal_2_kernelILi256EDF16_fDF16_PKPDF16_EviT2_lT3_lli.num_named_barrier, 0
	.set _ZL22rocblas_sscal_2_kernelILi256EDF16_fDF16_PKPDF16_EviT2_lT3_lli.private_seg_size, 0
	.set _ZL22rocblas_sscal_2_kernelILi256EDF16_fDF16_PKPDF16_EviT2_lT3_lli.uses_vcc, 1
	.set _ZL22rocblas_sscal_2_kernelILi256EDF16_fDF16_PKPDF16_EviT2_lT3_lli.uses_flat_scratch, 0
	.set _ZL22rocblas_sscal_2_kernelILi256EDF16_fDF16_PKPDF16_EviT2_lT3_lli.has_dyn_sized_stack, 0
	.set _ZL22rocblas_sscal_2_kernelILi256EDF16_fDF16_PKPDF16_EviT2_lT3_lli.has_recursion, 0
	.set _ZL22rocblas_sscal_2_kernelILi256EDF16_fDF16_PKPDF16_EviT2_lT3_lli.has_indirect_call, 0
	.section	.AMDGPU.csdata,"",@progbits
; Kernel info:
; codeLenInByte = 248
; TotalNumSgprs: 16
; NumVgprs: 4
; ScratchSize: 0
; MemoryBound: 0
; FloatMode: 240
; IeeeMode: 1
; LDSByteSize: 0 bytes/workgroup (compile time only)
; SGPRBlocks: 1
; VGPRBlocks: 0
; NumSGPRsForWavesPerEU: 16
; NumVGPRsForWavesPerEU: 4
; Occupancy: 10
; WaveLimiterHint : 1
; COMPUTE_PGM_RSRC2:SCRATCH_EN: 0
; COMPUTE_PGM_RSRC2:USER_SGPR: 6
; COMPUTE_PGM_RSRC2:TRAP_HANDLER: 0
; COMPUTE_PGM_RSRC2:TGID_X_EN: 1
; COMPUTE_PGM_RSRC2:TGID_Y_EN: 0
; COMPUTE_PGM_RSRC2:TGID_Z_EN: 1
; COMPUTE_PGM_RSRC2:TIDIG_COMP_CNT: 0
	.section	.text._ZL19rocblas_scal_kernelIiLi256EDF16_fPKDF16_PKPDF16_EviT3_lT4_lT_li,"axG",@progbits,_ZL19rocblas_scal_kernelIiLi256EDF16_fPKDF16_PKPDF16_EviT3_lT4_lT_li,comdat
	.globl	_ZL19rocblas_scal_kernelIiLi256EDF16_fPKDF16_PKPDF16_EviT3_lT4_lT_li ; -- Begin function _ZL19rocblas_scal_kernelIiLi256EDF16_fPKDF16_PKPDF16_EviT3_lT4_lT_li
	.p2align	8
	.type	_ZL19rocblas_scal_kernelIiLi256EDF16_fPKDF16_PKPDF16_EviT3_lT4_lT_li,@function
_ZL19rocblas_scal_kernelIiLi256EDF16_fPKDF16_PKPDF16_EviT3_lT4_lT_li: ; @_ZL19rocblas_scal_kernelIiLi256EDF16_fPKDF16_PKPDF16_EviT3_lT4_lT_li
; %bb.0:
	s_load_dwordx8 s[8:15], s[4:5], 0x8
	v_mov_b32_e32 v1, 0
	v_lshl_or_b32 v0, s6, 8, v0
	s_mov_b32 s2, s7
	s_waitcnt lgkmcnt(0)
	s_mul_i32 s0, s11, s7
	s_mul_hi_u32 s1, s10, s7
	s_add_i32 s1, s1, s0
	s_mul_i32 s0, s10, s7
	s_lshl_b64 s[0:1], s[0:1], 1
	s_add_u32 s0, s8, s0
	s_addc_u32 s1, s9, s1
	global_load_ushort v1, v1, s[0:1]
	s_load_dword s0, s[4:5], 0x0
	s_waitcnt lgkmcnt(0)
	v_cmp_gt_u32_e64 s[0:1], s0, v0
	s_waitcnt vmcnt(0)
	v_cmp_neq_f16_e32 vcc, 1.0, v1
	s_and_b64 s[0:1], s[0:1], vcc
	s_and_saveexec_b64 s[6:7], s[0:1]
	s_cbranch_execz .LBB102_2
; %bb.1:
	s_load_dword s4, s[4:5], 0x28
	s_mov_b32 s3, 0
	s_lshl_b64 s[0:1], s[2:3], 3
	s_waitcnt lgkmcnt(0)
	s_ashr_i32 s5, s4, 31
	v_mad_u64_u32 v[2:3], s[2:3], s4, v0, 0
	s_add_u32 s0, s12, s0
	s_addc_u32 s1, s13, s1
	s_load_dwordx2 s[0:1], s[0:1], 0x0
	v_mad_u64_u32 v[3:4], s[2:3], s5, v0, v[3:4]
	s_lshl_b64 s[2:3], s[14:15], 1
	s_waitcnt lgkmcnt(0)
	s_add_u32 s0, s0, s2
	v_lshlrev_b64 v[2:3], 1, v[2:3]
	s_addc_u32 s1, s1, s3
	v_mov_b32_e32 v0, s1
	v_add_co_u32_e32 v2, vcc, s0, v2
	v_addc_co_u32_e32 v3, vcc, v0, v3, vcc
	flat_load_ushort v0, v[2:3]
	s_waitcnt vmcnt(0) lgkmcnt(0)
	v_mul_f16_e32 v0, v1, v0
	flat_store_short v[2:3], v0
.LBB102_2:
	s_endpgm
	.section	.rodata,"a",@progbits
	.p2align	6, 0x0
	.amdhsa_kernel _ZL19rocblas_scal_kernelIiLi256EDF16_fPKDF16_PKPDF16_EviT3_lT4_lT_li
		.amdhsa_group_segment_fixed_size 0
		.amdhsa_private_segment_fixed_size 0
		.amdhsa_kernarg_size 60
		.amdhsa_user_sgpr_count 6
		.amdhsa_user_sgpr_private_segment_buffer 1
		.amdhsa_user_sgpr_dispatch_ptr 0
		.amdhsa_user_sgpr_queue_ptr 0
		.amdhsa_user_sgpr_kernarg_segment_ptr 1
		.amdhsa_user_sgpr_dispatch_id 0
		.amdhsa_user_sgpr_flat_scratch_init 0
		.amdhsa_user_sgpr_private_segment_size 0
		.amdhsa_uses_dynamic_stack 0
		.amdhsa_system_sgpr_private_segment_wavefront_offset 0
		.amdhsa_system_sgpr_workgroup_id_x 1
		.amdhsa_system_sgpr_workgroup_id_y 0
		.amdhsa_system_sgpr_workgroup_id_z 1
		.amdhsa_system_sgpr_workgroup_info 0
		.amdhsa_system_vgpr_workitem_id 0
		.amdhsa_next_free_vgpr 5
		.amdhsa_next_free_sgpr 16
		.amdhsa_reserve_vcc 1
		.amdhsa_reserve_flat_scratch 0
		.amdhsa_float_round_mode_32 0
		.amdhsa_float_round_mode_16_64 0
		.amdhsa_float_denorm_mode_32 3
		.amdhsa_float_denorm_mode_16_64 3
		.amdhsa_dx10_clamp 1
		.amdhsa_ieee_mode 1
		.amdhsa_fp16_overflow 0
		.amdhsa_exception_fp_ieee_invalid_op 0
		.amdhsa_exception_fp_denorm_src 0
		.amdhsa_exception_fp_ieee_div_zero 0
		.amdhsa_exception_fp_ieee_overflow 0
		.amdhsa_exception_fp_ieee_underflow 0
		.amdhsa_exception_fp_ieee_inexact 0
		.amdhsa_exception_int_div_zero 0
	.end_amdhsa_kernel
	.section	.text._ZL19rocblas_scal_kernelIiLi256EDF16_fPKDF16_PKPDF16_EviT3_lT4_lT_li,"axG",@progbits,_ZL19rocblas_scal_kernelIiLi256EDF16_fPKDF16_PKPDF16_EviT3_lT4_lT_li,comdat
.Lfunc_end102:
	.size	_ZL19rocblas_scal_kernelIiLi256EDF16_fPKDF16_PKPDF16_EviT3_lT4_lT_li, .Lfunc_end102-_ZL19rocblas_scal_kernelIiLi256EDF16_fPKDF16_PKPDF16_EviT3_lT4_lT_li
                                        ; -- End function
	.set _ZL19rocblas_scal_kernelIiLi256EDF16_fPKDF16_PKPDF16_EviT3_lT4_lT_li.num_vgpr, 5
	.set _ZL19rocblas_scal_kernelIiLi256EDF16_fPKDF16_PKPDF16_EviT3_lT4_lT_li.num_agpr, 0
	.set _ZL19rocblas_scal_kernelIiLi256EDF16_fPKDF16_PKPDF16_EviT3_lT4_lT_li.numbered_sgpr, 16
	.set _ZL19rocblas_scal_kernelIiLi256EDF16_fPKDF16_PKPDF16_EviT3_lT4_lT_li.num_named_barrier, 0
	.set _ZL19rocblas_scal_kernelIiLi256EDF16_fPKDF16_PKPDF16_EviT3_lT4_lT_li.private_seg_size, 0
	.set _ZL19rocblas_scal_kernelIiLi256EDF16_fPKDF16_PKPDF16_EviT3_lT4_lT_li.uses_vcc, 1
	.set _ZL19rocblas_scal_kernelIiLi256EDF16_fPKDF16_PKPDF16_EviT3_lT4_lT_li.uses_flat_scratch, 0
	.set _ZL19rocblas_scal_kernelIiLi256EDF16_fPKDF16_PKPDF16_EviT3_lT4_lT_li.has_dyn_sized_stack, 0
	.set _ZL19rocblas_scal_kernelIiLi256EDF16_fPKDF16_PKPDF16_EviT3_lT4_lT_li.has_recursion, 0
	.set _ZL19rocblas_scal_kernelIiLi256EDF16_fPKDF16_PKPDF16_EviT3_lT4_lT_li.has_indirect_call, 0
	.section	.AMDGPU.csdata,"",@progbits
; Kernel info:
; codeLenInByte = 224
; TotalNumSgprs: 20
; NumVgprs: 5
; ScratchSize: 0
; MemoryBound: 0
; FloatMode: 240
; IeeeMode: 1
; LDSByteSize: 0 bytes/workgroup (compile time only)
; SGPRBlocks: 2
; VGPRBlocks: 1
; NumSGPRsForWavesPerEU: 20
; NumVGPRsForWavesPerEU: 5
; Occupancy: 10
; WaveLimiterHint : 1
; COMPUTE_PGM_RSRC2:SCRATCH_EN: 0
; COMPUTE_PGM_RSRC2:USER_SGPR: 6
; COMPUTE_PGM_RSRC2:TRAP_HANDLER: 0
; COMPUTE_PGM_RSRC2:TGID_X_EN: 1
; COMPUTE_PGM_RSRC2:TGID_Y_EN: 0
; COMPUTE_PGM_RSRC2:TGID_Z_EN: 1
; COMPUTE_PGM_RSRC2:TIDIG_COMP_CNT: 0
	.section	.text._ZL19rocblas_scal_kernelIiLi256EDF16_fDF16_PKPDF16_EviT3_lT4_lT_li,"axG",@progbits,_ZL19rocblas_scal_kernelIiLi256EDF16_fDF16_PKPDF16_EviT3_lT4_lT_li,comdat
	.globl	_ZL19rocblas_scal_kernelIiLi256EDF16_fDF16_PKPDF16_EviT3_lT4_lT_li ; -- Begin function _ZL19rocblas_scal_kernelIiLi256EDF16_fDF16_PKPDF16_EviT3_lT4_lT_li
	.p2align	8
	.type	_ZL19rocblas_scal_kernelIiLi256EDF16_fDF16_PKPDF16_EviT3_lT4_lT_li,@function
_ZL19rocblas_scal_kernelIiLi256EDF16_fDF16_PKPDF16_EviT3_lT4_lT_li: ; @_ZL19rocblas_scal_kernelIiLi256EDF16_fDF16_PKPDF16_EviT3_lT4_lT_li
; %bb.0:
	s_load_dwordx2 s[0:1], s[4:5], 0x0
	v_lshl_or_b32 v0, s6, 8, v0
	s_mov_b32 s2, s7
	s_waitcnt lgkmcnt(0)
	v_cmp_neq_f16_e64 s[6:7], s1, 1.0
	v_cmp_gt_u32_e32 vcc, s0, v0
	s_and_b64 s[6:7], vcc, s[6:7]
	s_and_saveexec_b64 s[8:9], s[6:7]
	s_cbranch_execz .LBB103_2
; %bb.1:
	s_load_dword s0, s[4:5], 0x20
	s_load_dwordx4 s[8:11], s[4:5], 0x10
	s_mov_b32 s3, 0
	s_lshl_b64 s[2:3], s[2:3], 3
	s_waitcnt lgkmcnt(0)
	s_ashr_i32 s6, s0, 31
	v_mad_u64_u32 v[1:2], s[4:5], s0, v0, 0
	s_add_u32 s2, s8, s2
	s_addc_u32 s3, s9, s3
	s_load_dwordx2 s[2:3], s[2:3], 0x0
	v_mad_u64_u32 v[2:3], s[4:5], s6, v0, v[2:3]
	s_lshl_b64 s[4:5], s[10:11], 1
	s_waitcnt lgkmcnt(0)
	s_add_u32 s0, s2, s4
	v_lshlrev_b64 v[0:1], 1, v[1:2]
	s_addc_u32 s2, s3, s5
	v_mov_b32_e32 v2, s2
	v_add_co_u32_e32 v0, vcc, s0, v0
	v_addc_co_u32_e32 v1, vcc, v2, v1, vcc
	flat_load_ushort v2, v[0:1]
	s_waitcnt vmcnt(0) lgkmcnt(0)
	v_mul_f16_e32 v2, s1, v2
	flat_store_short v[0:1], v2
.LBB103_2:
	s_endpgm
	.section	.rodata,"a",@progbits
	.p2align	6, 0x0
	.amdhsa_kernel _ZL19rocblas_scal_kernelIiLi256EDF16_fDF16_PKPDF16_EviT3_lT4_lT_li
		.amdhsa_group_segment_fixed_size 0
		.amdhsa_private_segment_fixed_size 0
		.amdhsa_kernarg_size 52
		.amdhsa_user_sgpr_count 6
		.amdhsa_user_sgpr_private_segment_buffer 1
		.amdhsa_user_sgpr_dispatch_ptr 0
		.amdhsa_user_sgpr_queue_ptr 0
		.amdhsa_user_sgpr_kernarg_segment_ptr 1
		.amdhsa_user_sgpr_dispatch_id 0
		.amdhsa_user_sgpr_flat_scratch_init 0
		.amdhsa_user_sgpr_private_segment_size 0
		.amdhsa_uses_dynamic_stack 0
		.amdhsa_system_sgpr_private_segment_wavefront_offset 0
		.amdhsa_system_sgpr_workgroup_id_x 1
		.amdhsa_system_sgpr_workgroup_id_y 0
		.amdhsa_system_sgpr_workgroup_id_z 1
		.amdhsa_system_sgpr_workgroup_info 0
		.amdhsa_system_vgpr_workitem_id 0
		.amdhsa_next_free_vgpr 4
		.amdhsa_next_free_sgpr 12
		.amdhsa_reserve_vcc 1
		.amdhsa_reserve_flat_scratch 0
		.amdhsa_float_round_mode_32 0
		.amdhsa_float_round_mode_16_64 0
		.amdhsa_float_denorm_mode_32 3
		.amdhsa_float_denorm_mode_16_64 3
		.amdhsa_dx10_clamp 1
		.amdhsa_ieee_mode 1
		.amdhsa_fp16_overflow 0
		.amdhsa_exception_fp_ieee_invalid_op 0
		.amdhsa_exception_fp_denorm_src 0
		.amdhsa_exception_fp_ieee_div_zero 0
		.amdhsa_exception_fp_ieee_overflow 0
		.amdhsa_exception_fp_ieee_underflow 0
		.amdhsa_exception_fp_ieee_inexact 0
		.amdhsa_exception_int_div_zero 0
	.end_amdhsa_kernel
	.section	.text._ZL19rocblas_scal_kernelIiLi256EDF16_fDF16_PKPDF16_EviT3_lT4_lT_li,"axG",@progbits,_ZL19rocblas_scal_kernelIiLi256EDF16_fDF16_PKPDF16_EviT3_lT4_lT_li,comdat
.Lfunc_end103:
	.size	_ZL19rocblas_scal_kernelIiLi256EDF16_fDF16_PKPDF16_EviT3_lT4_lT_li, .Lfunc_end103-_ZL19rocblas_scal_kernelIiLi256EDF16_fDF16_PKPDF16_EviT3_lT4_lT_li
                                        ; -- End function
	.set _ZL19rocblas_scal_kernelIiLi256EDF16_fDF16_PKPDF16_EviT3_lT4_lT_li.num_vgpr, 4
	.set _ZL19rocblas_scal_kernelIiLi256EDF16_fDF16_PKPDF16_EviT3_lT4_lT_li.num_agpr, 0
	.set _ZL19rocblas_scal_kernelIiLi256EDF16_fDF16_PKPDF16_EviT3_lT4_lT_li.numbered_sgpr, 12
	.set _ZL19rocblas_scal_kernelIiLi256EDF16_fDF16_PKPDF16_EviT3_lT4_lT_li.num_named_barrier, 0
	.set _ZL19rocblas_scal_kernelIiLi256EDF16_fDF16_PKPDF16_EviT3_lT4_lT_li.private_seg_size, 0
	.set _ZL19rocblas_scal_kernelIiLi256EDF16_fDF16_PKPDF16_EviT3_lT4_lT_li.uses_vcc, 1
	.set _ZL19rocblas_scal_kernelIiLi256EDF16_fDF16_PKPDF16_EviT3_lT4_lT_li.uses_flat_scratch, 0
	.set _ZL19rocblas_scal_kernelIiLi256EDF16_fDF16_PKPDF16_EviT3_lT4_lT_li.has_dyn_sized_stack, 0
	.set _ZL19rocblas_scal_kernelIiLi256EDF16_fDF16_PKPDF16_EviT3_lT4_lT_li.has_recursion, 0
	.set _ZL19rocblas_scal_kernelIiLi256EDF16_fDF16_PKPDF16_EviT3_lT4_lT_li.has_indirect_call, 0
	.section	.AMDGPU.csdata,"",@progbits
; Kernel info:
; codeLenInByte = 176
; TotalNumSgprs: 16
; NumVgprs: 4
; ScratchSize: 0
; MemoryBound: 0
; FloatMode: 240
; IeeeMode: 1
; LDSByteSize: 0 bytes/workgroup (compile time only)
; SGPRBlocks: 1
; VGPRBlocks: 0
; NumSGPRsForWavesPerEU: 16
; NumVGPRsForWavesPerEU: 4
; Occupancy: 10
; WaveLimiterHint : 1
; COMPUTE_PGM_RSRC2:SCRATCH_EN: 0
; COMPUTE_PGM_RSRC2:USER_SGPR: 6
; COMPUTE_PGM_RSRC2:TRAP_HANDLER: 0
; COMPUTE_PGM_RSRC2:TGID_X_EN: 1
; COMPUTE_PGM_RSRC2:TGID_Y_EN: 0
; COMPUTE_PGM_RSRC2:TGID_Z_EN: 1
; COMPUTE_PGM_RSRC2:TIDIG_COMP_CNT: 0
	.section	.text._ZL19rocblas_scal_kernelIlLi256EDF16_fPKDF16_PKPDF16_EviT3_lT4_lT_li,"axG",@progbits,_ZL19rocblas_scal_kernelIlLi256EDF16_fPKDF16_PKPDF16_EviT3_lT4_lT_li,comdat
	.globl	_ZL19rocblas_scal_kernelIlLi256EDF16_fPKDF16_PKPDF16_EviT3_lT4_lT_li ; -- Begin function _ZL19rocblas_scal_kernelIlLi256EDF16_fPKDF16_PKPDF16_EviT3_lT4_lT_li
	.p2align	8
	.type	_ZL19rocblas_scal_kernelIlLi256EDF16_fPKDF16_PKPDF16_EviT3_lT4_lT_li,@function
_ZL19rocblas_scal_kernelIlLi256EDF16_fPKDF16_PKPDF16_EviT3_lT4_lT_li: ; @_ZL19rocblas_scal_kernelIlLi256EDF16_fPKDF16_PKPDF16_EviT3_lT4_lT_li
; %bb.0:
	s_load_dwordx8 s[8:15], s[4:5], 0x8
	v_mov_b32_e32 v1, 0
	v_lshl_or_b32 v0, s6, 8, v0
	s_mov_b32 s2, s7
	s_waitcnt lgkmcnt(0)
	s_mul_i32 s0, s11, s7
	s_mul_hi_u32 s1, s10, s7
	s_add_i32 s1, s1, s0
	s_mul_i32 s0, s10, s7
	s_lshl_b64 s[0:1], s[0:1], 1
	s_add_u32 s0, s8, s0
	s_addc_u32 s1, s9, s1
	global_load_ushort v1, v1, s[0:1]
	s_load_dword s0, s[4:5], 0x0
	s_waitcnt lgkmcnt(0)
	v_cmp_gt_u32_e64 s[0:1], s0, v0
	s_waitcnt vmcnt(0)
	v_cmp_neq_f16_e32 vcc, 1.0, v1
	s_and_b64 s[0:1], s[0:1], vcc
	s_and_saveexec_b64 s[6:7], s[0:1]
	s_cbranch_execz .LBB104_2
; %bb.1:
	s_load_dwordx2 s[0:1], s[4:5], 0x28
	s_mov_b32 s3, 0
	s_lshl_b64 s[2:3], s[2:3], 3
	s_add_u32 s2, s12, s2
	s_addc_u32 s3, s13, s3
	s_waitcnt lgkmcnt(0)
	v_mad_u64_u32 v[2:3], s[4:5], s0, v0, 0
	s_load_dwordx2 s[2:3], s[2:3], 0x0
	v_mad_u64_u32 v[3:4], s[0:1], s1, v0, v[3:4]
	s_lshl_b64 s[0:1], s[14:15], 1
	s_waitcnt lgkmcnt(0)
	s_add_u32 s0, s2, s0
	v_lshlrev_b64 v[2:3], 1, v[2:3]
	s_addc_u32 s1, s3, s1
	v_mov_b32_e32 v0, s1
	v_add_co_u32_e32 v2, vcc, s0, v2
	v_addc_co_u32_e32 v3, vcc, v0, v3, vcc
	flat_load_ushort v0, v[2:3]
	s_waitcnt vmcnt(0) lgkmcnt(0)
	v_mul_f16_e32 v0, v1, v0
	flat_store_short v[2:3], v0
.LBB104_2:
	s_endpgm
	.section	.rodata,"a",@progbits
	.p2align	6, 0x0
	.amdhsa_kernel _ZL19rocblas_scal_kernelIlLi256EDF16_fPKDF16_PKPDF16_EviT3_lT4_lT_li
		.amdhsa_group_segment_fixed_size 0
		.amdhsa_private_segment_fixed_size 0
		.amdhsa_kernarg_size 60
		.amdhsa_user_sgpr_count 6
		.amdhsa_user_sgpr_private_segment_buffer 1
		.amdhsa_user_sgpr_dispatch_ptr 0
		.amdhsa_user_sgpr_queue_ptr 0
		.amdhsa_user_sgpr_kernarg_segment_ptr 1
		.amdhsa_user_sgpr_dispatch_id 0
		.amdhsa_user_sgpr_flat_scratch_init 0
		.amdhsa_user_sgpr_private_segment_size 0
		.amdhsa_uses_dynamic_stack 0
		.amdhsa_system_sgpr_private_segment_wavefront_offset 0
		.amdhsa_system_sgpr_workgroup_id_x 1
		.amdhsa_system_sgpr_workgroup_id_y 0
		.amdhsa_system_sgpr_workgroup_id_z 1
		.amdhsa_system_sgpr_workgroup_info 0
		.amdhsa_system_vgpr_workitem_id 0
		.amdhsa_next_free_vgpr 5
		.amdhsa_next_free_sgpr 16
		.amdhsa_reserve_vcc 1
		.amdhsa_reserve_flat_scratch 0
		.amdhsa_float_round_mode_32 0
		.amdhsa_float_round_mode_16_64 0
		.amdhsa_float_denorm_mode_32 3
		.amdhsa_float_denorm_mode_16_64 3
		.amdhsa_dx10_clamp 1
		.amdhsa_ieee_mode 1
		.amdhsa_fp16_overflow 0
		.amdhsa_exception_fp_ieee_invalid_op 0
		.amdhsa_exception_fp_denorm_src 0
		.amdhsa_exception_fp_ieee_div_zero 0
		.amdhsa_exception_fp_ieee_overflow 0
		.amdhsa_exception_fp_ieee_underflow 0
		.amdhsa_exception_fp_ieee_inexact 0
		.amdhsa_exception_int_div_zero 0
	.end_amdhsa_kernel
	.section	.text._ZL19rocblas_scal_kernelIlLi256EDF16_fPKDF16_PKPDF16_EviT3_lT4_lT_li,"axG",@progbits,_ZL19rocblas_scal_kernelIlLi256EDF16_fPKDF16_PKPDF16_EviT3_lT4_lT_li,comdat
.Lfunc_end104:
	.size	_ZL19rocblas_scal_kernelIlLi256EDF16_fPKDF16_PKPDF16_EviT3_lT4_lT_li, .Lfunc_end104-_ZL19rocblas_scal_kernelIlLi256EDF16_fPKDF16_PKPDF16_EviT3_lT4_lT_li
                                        ; -- End function
	.set _ZL19rocblas_scal_kernelIlLi256EDF16_fPKDF16_PKPDF16_EviT3_lT4_lT_li.num_vgpr, 5
	.set _ZL19rocblas_scal_kernelIlLi256EDF16_fPKDF16_PKPDF16_EviT3_lT4_lT_li.num_agpr, 0
	.set _ZL19rocblas_scal_kernelIlLi256EDF16_fPKDF16_PKPDF16_EviT3_lT4_lT_li.numbered_sgpr, 16
	.set _ZL19rocblas_scal_kernelIlLi256EDF16_fPKDF16_PKPDF16_EviT3_lT4_lT_li.num_named_barrier, 0
	.set _ZL19rocblas_scal_kernelIlLi256EDF16_fPKDF16_PKPDF16_EviT3_lT4_lT_li.private_seg_size, 0
	.set _ZL19rocblas_scal_kernelIlLi256EDF16_fPKDF16_PKPDF16_EviT3_lT4_lT_li.uses_vcc, 1
	.set _ZL19rocblas_scal_kernelIlLi256EDF16_fPKDF16_PKPDF16_EviT3_lT4_lT_li.uses_flat_scratch, 0
	.set _ZL19rocblas_scal_kernelIlLi256EDF16_fPKDF16_PKPDF16_EviT3_lT4_lT_li.has_dyn_sized_stack, 0
	.set _ZL19rocblas_scal_kernelIlLi256EDF16_fPKDF16_PKPDF16_EviT3_lT4_lT_li.has_recursion, 0
	.set _ZL19rocblas_scal_kernelIlLi256EDF16_fPKDF16_PKPDF16_EviT3_lT4_lT_li.has_indirect_call, 0
	.section	.AMDGPU.csdata,"",@progbits
; Kernel info:
; codeLenInByte = 220
; TotalNumSgprs: 20
; NumVgprs: 5
; ScratchSize: 0
; MemoryBound: 0
; FloatMode: 240
; IeeeMode: 1
; LDSByteSize: 0 bytes/workgroup (compile time only)
; SGPRBlocks: 2
; VGPRBlocks: 1
; NumSGPRsForWavesPerEU: 20
; NumVGPRsForWavesPerEU: 5
; Occupancy: 10
; WaveLimiterHint : 1
; COMPUTE_PGM_RSRC2:SCRATCH_EN: 0
; COMPUTE_PGM_RSRC2:USER_SGPR: 6
; COMPUTE_PGM_RSRC2:TRAP_HANDLER: 0
; COMPUTE_PGM_RSRC2:TGID_X_EN: 1
; COMPUTE_PGM_RSRC2:TGID_Y_EN: 0
; COMPUTE_PGM_RSRC2:TGID_Z_EN: 1
; COMPUTE_PGM_RSRC2:TIDIG_COMP_CNT: 0
	.section	.text._ZL19rocblas_scal_kernelIlLi256EDF16_fDF16_PKPDF16_EviT3_lT4_lT_li,"axG",@progbits,_ZL19rocblas_scal_kernelIlLi256EDF16_fDF16_PKPDF16_EviT3_lT4_lT_li,comdat
	.globl	_ZL19rocblas_scal_kernelIlLi256EDF16_fDF16_PKPDF16_EviT3_lT4_lT_li ; -- Begin function _ZL19rocblas_scal_kernelIlLi256EDF16_fDF16_PKPDF16_EviT3_lT4_lT_li
	.p2align	8
	.type	_ZL19rocblas_scal_kernelIlLi256EDF16_fDF16_PKPDF16_EviT3_lT4_lT_li,@function
_ZL19rocblas_scal_kernelIlLi256EDF16_fDF16_PKPDF16_EviT3_lT4_lT_li: ; @_ZL19rocblas_scal_kernelIlLi256EDF16_fDF16_PKPDF16_EviT3_lT4_lT_li
; %bb.0:
	s_load_dwordx2 s[0:1], s[4:5], 0x0
	v_lshl_or_b32 v0, s6, 8, v0
	s_mov_b32 s2, s7
	s_waitcnt lgkmcnt(0)
	v_cmp_neq_f16_e64 s[6:7], s1, 1.0
	v_cmp_gt_u32_e32 vcc, s0, v0
	s_and_b64 s[6:7], vcc, s[6:7]
	s_and_saveexec_b64 s[8:9], s[6:7]
	s_cbranch_execz .LBB105_2
; %bb.1:
	s_load_dwordx2 s[6:7], s[4:5], 0x20
	s_load_dwordx4 s[8:11], s[4:5], 0x10
	s_mov_b32 s3, 0
	s_lshl_b64 s[2:3], s[2:3], 3
	s_waitcnt lgkmcnt(0)
	v_mad_u64_u32 v[1:2], s[4:5], s6, v0, 0
	s_add_u32 s2, s8, s2
	s_addc_u32 s3, s9, s3
	s_load_dwordx2 s[2:3], s[2:3], 0x0
	v_mad_u64_u32 v[2:3], s[4:5], s7, v0, v[2:3]
	s_lshl_b64 s[4:5], s[10:11], 1
	s_waitcnt lgkmcnt(0)
	s_add_u32 s0, s2, s4
	v_lshlrev_b64 v[0:1], 1, v[1:2]
	s_addc_u32 s2, s3, s5
	v_mov_b32_e32 v2, s2
	v_add_co_u32_e32 v0, vcc, s0, v0
	v_addc_co_u32_e32 v1, vcc, v2, v1, vcc
	flat_load_ushort v2, v[0:1]
	s_waitcnt vmcnt(0) lgkmcnt(0)
	v_mul_f16_e32 v2, s1, v2
	flat_store_short v[0:1], v2
.LBB105_2:
	s_endpgm
	.section	.rodata,"a",@progbits
	.p2align	6, 0x0
	.amdhsa_kernel _ZL19rocblas_scal_kernelIlLi256EDF16_fDF16_PKPDF16_EviT3_lT4_lT_li
		.amdhsa_group_segment_fixed_size 0
		.amdhsa_private_segment_fixed_size 0
		.amdhsa_kernarg_size 52
		.amdhsa_user_sgpr_count 6
		.amdhsa_user_sgpr_private_segment_buffer 1
		.amdhsa_user_sgpr_dispatch_ptr 0
		.amdhsa_user_sgpr_queue_ptr 0
		.amdhsa_user_sgpr_kernarg_segment_ptr 1
		.amdhsa_user_sgpr_dispatch_id 0
		.amdhsa_user_sgpr_flat_scratch_init 0
		.amdhsa_user_sgpr_private_segment_size 0
		.amdhsa_uses_dynamic_stack 0
		.amdhsa_system_sgpr_private_segment_wavefront_offset 0
		.amdhsa_system_sgpr_workgroup_id_x 1
		.amdhsa_system_sgpr_workgroup_id_y 0
		.amdhsa_system_sgpr_workgroup_id_z 1
		.amdhsa_system_sgpr_workgroup_info 0
		.amdhsa_system_vgpr_workitem_id 0
		.amdhsa_next_free_vgpr 4
		.amdhsa_next_free_sgpr 12
		.amdhsa_reserve_vcc 1
		.amdhsa_reserve_flat_scratch 0
		.amdhsa_float_round_mode_32 0
		.amdhsa_float_round_mode_16_64 0
		.amdhsa_float_denorm_mode_32 3
		.amdhsa_float_denorm_mode_16_64 3
		.amdhsa_dx10_clamp 1
		.amdhsa_ieee_mode 1
		.amdhsa_fp16_overflow 0
		.amdhsa_exception_fp_ieee_invalid_op 0
		.amdhsa_exception_fp_denorm_src 0
		.amdhsa_exception_fp_ieee_div_zero 0
		.amdhsa_exception_fp_ieee_overflow 0
		.amdhsa_exception_fp_ieee_underflow 0
		.amdhsa_exception_fp_ieee_inexact 0
		.amdhsa_exception_int_div_zero 0
	.end_amdhsa_kernel
	.section	.text._ZL19rocblas_scal_kernelIlLi256EDF16_fDF16_PKPDF16_EviT3_lT4_lT_li,"axG",@progbits,_ZL19rocblas_scal_kernelIlLi256EDF16_fDF16_PKPDF16_EviT3_lT4_lT_li,comdat
.Lfunc_end105:
	.size	_ZL19rocblas_scal_kernelIlLi256EDF16_fDF16_PKPDF16_EviT3_lT4_lT_li, .Lfunc_end105-_ZL19rocblas_scal_kernelIlLi256EDF16_fDF16_PKPDF16_EviT3_lT4_lT_li
                                        ; -- End function
	.set _ZL19rocblas_scal_kernelIlLi256EDF16_fDF16_PKPDF16_EviT3_lT4_lT_li.num_vgpr, 4
	.set _ZL19rocblas_scal_kernelIlLi256EDF16_fDF16_PKPDF16_EviT3_lT4_lT_li.num_agpr, 0
	.set _ZL19rocblas_scal_kernelIlLi256EDF16_fDF16_PKPDF16_EviT3_lT4_lT_li.numbered_sgpr, 12
	.set _ZL19rocblas_scal_kernelIlLi256EDF16_fDF16_PKPDF16_EviT3_lT4_lT_li.num_named_barrier, 0
	.set _ZL19rocblas_scal_kernelIlLi256EDF16_fDF16_PKPDF16_EviT3_lT4_lT_li.private_seg_size, 0
	.set _ZL19rocblas_scal_kernelIlLi256EDF16_fDF16_PKPDF16_EviT3_lT4_lT_li.uses_vcc, 1
	.set _ZL19rocblas_scal_kernelIlLi256EDF16_fDF16_PKPDF16_EviT3_lT4_lT_li.uses_flat_scratch, 0
	.set _ZL19rocblas_scal_kernelIlLi256EDF16_fDF16_PKPDF16_EviT3_lT4_lT_li.has_dyn_sized_stack, 0
	.set _ZL19rocblas_scal_kernelIlLi256EDF16_fDF16_PKPDF16_EviT3_lT4_lT_li.has_recursion, 0
	.set _ZL19rocblas_scal_kernelIlLi256EDF16_fDF16_PKPDF16_EviT3_lT4_lT_li.has_indirect_call, 0
	.section	.AMDGPU.csdata,"",@progbits
; Kernel info:
; codeLenInByte = 172
; TotalNumSgprs: 16
; NumVgprs: 4
; ScratchSize: 0
; MemoryBound: 0
; FloatMode: 240
; IeeeMode: 1
; LDSByteSize: 0 bytes/workgroup (compile time only)
; SGPRBlocks: 1
; VGPRBlocks: 0
; NumSGPRsForWavesPerEU: 16
; NumVGPRsForWavesPerEU: 4
; Occupancy: 10
; WaveLimiterHint : 1
; COMPUTE_PGM_RSRC2:SCRATCH_EN: 0
; COMPUTE_PGM_RSRC2:USER_SGPR: 6
; COMPUTE_PGM_RSRC2:TRAP_HANDLER: 0
; COMPUTE_PGM_RSRC2:TGID_X_EN: 1
; COMPUTE_PGM_RSRC2:TGID_Y_EN: 0
; COMPUTE_PGM_RSRC2:TGID_Z_EN: 1
; COMPUTE_PGM_RSRC2:TIDIG_COMP_CNT: 0
	.section	.text._ZL22rocblas_sscal_2_kernelILi256EDF16_fPKfPKPDF16_EviT2_lT3_lli,"axG",@progbits,_ZL22rocblas_sscal_2_kernelILi256EDF16_fPKfPKPDF16_EviT2_lT3_lli,comdat
	.globl	_ZL22rocblas_sscal_2_kernelILi256EDF16_fPKfPKPDF16_EviT2_lT3_lli ; -- Begin function _ZL22rocblas_sscal_2_kernelILi256EDF16_fPKfPKPDF16_EviT2_lT3_lli
	.p2align	8
	.type	_ZL22rocblas_sscal_2_kernelILi256EDF16_fPKfPKPDF16_EviT2_lT3_lli,@function
_ZL22rocblas_sscal_2_kernelILi256EDF16_fPKfPKPDF16_EviT2_lT3_lli: ; @_ZL22rocblas_sscal_2_kernelILi256EDF16_fPKfPKPDF16_EviT2_lT3_lli
; %bb.0:
	s_load_dwordx4 s[8:11], s[4:5], 0x8
	s_waitcnt lgkmcnt(0)
	s_mul_i32 s1, s11, s7
	s_mul_hi_u32 s2, s10, s7
	s_add_i32 s3, s2, s1
	s_mul_i32 s2, s10, s7
	s_lshl_b64 s[2:3], s[2:3], 2
	s_add_u32 s2, s8, s2
	s_addc_u32 s3, s9, s3
	s_load_dword s2, s[2:3], 0x0
	s_waitcnt lgkmcnt(0)
	v_cmp_eq_f32_e64 s[8:9], s2, 1.0
	s_and_b64 vcc, exec, s[8:9]
	s_cbranch_vccnz .LBB106_5
; %bb.1:
	s_load_dwordx4 s[8:11], s[4:5], 0x18
	s_load_dword s3, s[4:5], 0x0
	s_mov_b32 s0, s7
	s_mov_b32 s1, 0
	s_lshl_b64 s[0:1], s[0:1], 3
	s_waitcnt lgkmcnt(0)
	s_add_u32 s0, s8, s0
	s_addc_u32 s1, s9, s1
	s_load_dwordx2 s[0:1], s[0:1], 0x0
	v_lshlrev_b32_e32 v0, 1, v0
	v_lshl_or_b32 v0, s6, 9, v0
	s_lshl_b64 s[4:5], s[10:11], 1
	v_or_b32_e32 v1, 1, v0
	s_waitcnt lgkmcnt(0)
	s_add_u32 s4, s0, s4
	s_addc_u32 s5, s1, s5
	v_cmp_gt_u32_e32 vcc, s3, v1
	s_and_saveexec_b64 s[0:1], vcc
	s_cbranch_execz .LBB106_3
; %bb.2:
	v_mov_b32_e32 v1, 0
	v_lshlrev_b64 v[1:2], 1, v[0:1]
	v_mov_b32_e32 v3, s5
	v_add_co_u32_e32 v1, vcc, s4, v1
	v_addc_co_u32_e32 v2, vcc, v3, v2, vcc
	flat_load_dword v3, v[1:2]
	s_waitcnt vmcnt(0) lgkmcnt(0)
	v_fma_mixlo_f16 v4, s2, v3, 0 op_sel_hi:[0,1,0]
	v_fma_mixhi_f16 v4, s2, v3, 0 op_sel:[0,1,0] op_sel_hi:[0,1,0]
	flat_store_dword v[1:2], v4
.LBB106_3:
	s_or_b64 exec, exec, s[0:1]
	s_bitcmp1_b32 s3, 0
	s_cselect_b64 s[0:1], -1, 0
	s_add_i32 s3, s3, -1
	v_cmp_eq_u32_e32 vcc, s3, v0
	s_and_b64 s[0:1], s[0:1], vcc
	s_and_saveexec_b64 s[6:7], s[0:1]
	s_cbranch_execz .LBB106_5
; %bb.4:
	v_mov_b32_e32 v1, 0
	v_lshlrev_b64 v[0:1], 1, v[0:1]
	v_mov_b32_e32 v2, s5
	v_add_co_u32_e32 v0, vcc, s4, v0
	v_addc_co_u32_e32 v1, vcc, v2, v1, vcc
	flat_load_ushort v2, v[0:1]
	s_waitcnt vmcnt(0) lgkmcnt(0)
	v_fma_mixlo_f16 v2, s2, v2, 0 op_sel_hi:[0,1,0]
	flat_store_short v[0:1], v2
.LBB106_5:
	s_endpgm
	.section	.rodata,"a",@progbits
	.p2align	6, 0x0
	.amdhsa_kernel _ZL22rocblas_sscal_2_kernelILi256EDF16_fPKfPKPDF16_EviT2_lT3_lli
		.amdhsa_group_segment_fixed_size 0
		.amdhsa_private_segment_fixed_size 0
		.amdhsa_kernarg_size 52
		.amdhsa_user_sgpr_count 6
		.amdhsa_user_sgpr_private_segment_buffer 1
		.amdhsa_user_sgpr_dispatch_ptr 0
		.amdhsa_user_sgpr_queue_ptr 0
		.amdhsa_user_sgpr_kernarg_segment_ptr 1
		.amdhsa_user_sgpr_dispatch_id 0
		.amdhsa_user_sgpr_flat_scratch_init 0
		.amdhsa_user_sgpr_private_segment_size 0
		.amdhsa_uses_dynamic_stack 0
		.amdhsa_system_sgpr_private_segment_wavefront_offset 0
		.amdhsa_system_sgpr_workgroup_id_x 1
		.amdhsa_system_sgpr_workgroup_id_y 0
		.amdhsa_system_sgpr_workgroup_id_z 1
		.amdhsa_system_sgpr_workgroup_info 0
		.amdhsa_system_vgpr_workitem_id 0
		.amdhsa_next_free_vgpr 5
		.amdhsa_next_free_sgpr 12
		.amdhsa_reserve_vcc 1
		.amdhsa_reserve_flat_scratch 0
		.amdhsa_float_round_mode_32 0
		.amdhsa_float_round_mode_16_64 0
		.amdhsa_float_denorm_mode_32 3
		.amdhsa_float_denorm_mode_16_64 3
		.amdhsa_dx10_clamp 1
		.amdhsa_ieee_mode 1
		.amdhsa_fp16_overflow 0
		.amdhsa_exception_fp_ieee_invalid_op 0
		.amdhsa_exception_fp_denorm_src 0
		.amdhsa_exception_fp_ieee_div_zero 0
		.amdhsa_exception_fp_ieee_overflow 0
		.amdhsa_exception_fp_ieee_underflow 0
		.amdhsa_exception_fp_ieee_inexact 0
		.amdhsa_exception_int_div_zero 0
	.end_amdhsa_kernel
	.section	.text._ZL22rocblas_sscal_2_kernelILi256EDF16_fPKfPKPDF16_EviT2_lT3_lli,"axG",@progbits,_ZL22rocblas_sscal_2_kernelILi256EDF16_fPKfPKPDF16_EviT2_lT3_lli,comdat
.Lfunc_end106:
	.size	_ZL22rocblas_sscal_2_kernelILi256EDF16_fPKfPKPDF16_EviT2_lT3_lli, .Lfunc_end106-_ZL22rocblas_sscal_2_kernelILi256EDF16_fPKfPKPDF16_EviT2_lT3_lli
                                        ; -- End function
	.set _ZL22rocblas_sscal_2_kernelILi256EDF16_fPKfPKPDF16_EviT2_lT3_lli.num_vgpr, 5
	.set _ZL22rocblas_sscal_2_kernelILi256EDF16_fPKfPKPDF16_EviT2_lT3_lli.num_agpr, 0
	.set _ZL22rocblas_sscal_2_kernelILi256EDF16_fPKfPKPDF16_EviT2_lT3_lli.numbered_sgpr, 12
	.set _ZL22rocblas_sscal_2_kernelILi256EDF16_fPKfPKPDF16_EviT2_lT3_lli.num_named_barrier, 0
	.set _ZL22rocblas_sscal_2_kernelILi256EDF16_fPKfPKPDF16_EviT2_lT3_lli.private_seg_size, 0
	.set _ZL22rocblas_sscal_2_kernelILi256EDF16_fPKfPKPDF16_EviT2_lT3_lli.uses_vcc, 1
	.set _ZL22rocblas_sscal_2_kernelILi256EDF16_fPKfPKPDF16_EviT2_lT3_lli.uses_flat_scratch, 0
	.set _ZL22rocblas_sscal_2_kernelILi256EDF16_fPKfPKPDF16_EviT2_lT3_lli.has_dyn_sized_stack, 0
	.set _ZL22rocblas_sscal_2_kernelILi256EDF16_fPKfPKPDF16_EviT2_lT3_lli.has_recursion, 0
	.set _ZL22rocblas_sscal_2_kernelILi256EDF16_fPKfPKPDF16_EviT2_lT3_lli.has_indirect_call, 0
	.section	.AMDGPU.csdata,"",@progbits
; Kernel info:
; codeLenInByte = 308
; TotalNumSgprs: 16
; NumVgprs: 5
; ScratchSize: 0
; MemoryBound: 0
; FloatMode: 240
; IeeeMode: 1
; LDSByteSize: 0 bytes/workgroup (compile time only)
; SGPRBlocks: 1
; VGPRBlocks: 1
; NumSGPRsForWavesPerEU: 16
; NumVGPRsForWavesPerEU: 5
; Occupancy: 10
; WaveLimiterHint : 1
; COMPUTE_PGM_RSRC2:SCRATCH_EN: 0
; COMPUTE_PGM_RSRC2:USER_SGPR: 6
; COMPUTE_PGM_RSRC2:TRAP_HANDLER: 0
; COMPUTE_PGM_RSRC2:TGID_X_EN: 1
; COMPUTE_PGM_RSRC2:TGID_Y_EN: 0
; COMPUTE_PGM_RSRC2:TGID_Z_EN: 1
; COMPUTE_PGM_RSRC2:TIDIG_COMP_CNT: 0
	.section	.text._ZL22rocblas_sscal_2_kernelILi256EDF16_ffPKPDF16_EviT2_lT3_lli,"axG",@progbits,_ZL22rocblas_sscal_2_kernelILi256EDF16_ffPKPDF16_EviT2_lT3_lli,comdat
	.globl	_ZL22rocblas_sscal_2_kernelILi256EDF16_ffPKPDF16_EviT2_lT3_lli ; -- Begin function _ZL22rocblas_sscal_2_kernelILi256EDF16_ffPKPDF16_EviT2_lT3_lli
	.p2align	8
	.type	_ZL22rocblas_sscal_2_kernelILi256EDF16_ffPKPDF16_EviT2_lT3_lli,@function
_ZL22rocblas_sscal_2_kernelILi256EDF16_ffPKPDF16_EviT2_lT3_lli: ; @_ZL22rocblas_sscal_2_kernelILi256EDF16_ffPKPDF16_EviT2_lT3_lli
; %bb.0:
	s_load_dwordx2 s[0:1], s[4:5], 0x0
	s_waitcnt lgkmcnt(0)
	v_cmp_eq_f32_e64 s[8:9], s1, 1.0
	s_and_b64 vcc, exec, s[8:9]
	s_cbranch_vccnz .LBB107_5
; %bb.1:
	s_load_dwordx4 s[8:11], s[4:5], 0x10
	s_mov_b32 s2, s7
	s_mov_b32 s3, 0
	s_lshl_b64 s[2:3], s[2:3], 3
	v_lshlrev_b32_e32 v0, 1, v0
	s_waitcnt lgkmcnt(0)
	s_add_u32 s2, s8, s2
	s_addc_u32 s3, s9, s3
	s_load_dwordx2 s[2:3], s[2:3], 0x0
	v_lshl_or_b32 v0, s6, 9, v0
	s_lshl_b64 s[4:5], s[10:11], 1
	v_or_b32_e32 v1, 1, v0
	v_cmp_gt_u32_e32 vcc, s0, v1
	s_waitcnt lgkmcnt(0)
	s_add_u32 s4, s2, s4
	s_addc_u32 s5, s3, s5
	s_and_saveexec_b64 s[2:3], vcc
	s_cbranch_execz .LBB107_3
; %bb.2:
	v_mov_b32_e32 v1, 0
	v_lshlrev_b64 v[1:2], 1, v[0:1]
	v_mov_b32_e32 v3, s5
	v_add_co_u32_e32 v1, vcc, s4, v1
	v_addc_co_u32_e32 v2, vcc, v3, v2, vcc
	flat_load_dword v3, v[1:2]
	s_waitcnt vmcnt(0) lgkmcnt(0)
	v_fma_mixlo_f16 v4, s1, v3, 0 op_sel_hi:[0,1,0]
	v_fma_mixhi_f16 v4, s1, v3, 0 op_sel:[0,1,0] op_sel_hi:[0,1,0]
	flat_store_dword v[1:2], v4
.LBB107_3:
	s_or_b64 exec, exec, s[2:3]
	s_bitcmp1_b32 s0, 0
	s_cselect_b64 s[2:3], -1, 0
	s_add_i32 s0, s0, -1
	v_cmp_eq_u32_e32 vcc, s0, v0
	s_and_b64 s[2:3], s[2:3], vcc
	s_and_saveexec_b64 s[6:7], s[2:3]
	s_cbranch_execz .LBB107_5
; %bb.4:
	v_mov_b32_e32 v1, 0
	v_lshlrev_b64 v[0:1], 1, v[0:1]
	v_mov_b32_e32 v2, s5
	v_add_co_u32_e32 v0, vcc, s4, v0
	v_addc_co_u32_e32 v1, vcc, v2, v1, vcc
	flat_load_ushort v2, v[0:1]
	s_waitcnt vmcnt(0) lgkmcnt(0)
	v_fma_mixlo_f16 v2, s1, v2, 0 op_sel_hi:[0,1,0]
	flat_store_short v[0:1], v2
.LBB107_5:
	s_endpgm
	.section	.rodata,"a",@progbits
	.p2align	6, 0x0
	.amdhsa_kernel _ZL22rocblas_sscal_2_kernelILi256EDF16_ffPKPDF16_EviT2_lT3_lli
		.amdhsa_group_segment_fixed_size 0
		.amdhsa_private_segment_fixed_size 0
		.amdhsa_kernarg_size 44
		.amdhsa_user_sgpr_count 6
		.amdhsa_user_sgpr_private_segment_buffer 1
		.amdhsa_user_sgpr_dispatch_ptr 0
		.amdhsa_user_sgpr_queue_ptr 0
		.amdhsa_user_sgpr_kernarg_segment_ptr 1
		.amdhsa_user_sgpr_dispatch_id 0
		.amdhsa_user_sgpr_flat_scratch_init 0
		.amdhsa_user_sgpr_private_segment_size 0
		.amdhsa_uses_dynamic_stack 0
		.amdhsa_system_sgpr_private_segment_wavefront_offset 0
		.amdhsa_system_sgpr_workgroup_id_x 1
		.amdhsa_system_sgpr_workgroup_id_y 0
		.amdhsa_system_sgpr_workgroup_id_z 1
		.amdhsa_system_sgpr_workgroup_info 0
		.amdhsa_system_vgpr_workitem_id 0
		.amdhsa_next_free_vgpr 5
		.amdhsa_next_free_sgpr 12
		.amdhsa_reserve_vcc 1
		.amdhsa_reserve_flat_scratch 0
		.amdhsa_float_round_mode_32 0
		.amdhsa_float_round_mode_16_64 0
		.amdhsa_float_denorm_mode_32 3
		.amdhsa_float_denorm_mode_16_64 3
		.amdhsa_dx10_clamp 1
		.amdhsa_ieee_mode 1
		.amdhsa_fp16_overflow 0
		.amdhsa_exception_fp_ieee_invalid_op 0
		.amdhsa_exception_fp_denorm_src 0
		.amdhsa_exception_fp_ieee_div_zero 0
		.amdhsa_exception_fp_ieee_overflow 0
		.amdhsa_exception_fp_ieee_underflow 0
		.amdhsa_exception_fp_ieee_inexact 0
		.amdhsa_exception_int_div_zero 0
	.end_amdhsa_kernel
	.section	.text._ZL22rocblas_sscal_2_kernelILi256EDF16_ffPKPDF16_EviT2_lT3_lli,"axG",@progbits,_ZL22rocblas_sscal_2_kernelILi256EDF16_ffPKPDF16_EviT2_lT3_lli,comdat
.Lfunc_end107:
	.size	_ZL22rocblas_sscal_2_kernelILi256EDF16_ffPKPDF16_EviT2_lT3_lli, .Lfunc_end107-_ZL22rocblas_sscal_2_kernelILi256EDF16_ffPKPDF16_EviT2_lT3_lli
                                        ; -- End function
	.set _ZL22rocblas_sscal_2_kernelILi256EDF16_ffPKPDF16_EviT2_lT3_lli.num_vgpr, 5
	.set _ZL22rocblas_sscal_2_kernelILi256EDF16_ffPKPDF16_EviT2_lT3_lli.num_agpr, 0
	.set _ZL22rocblas_sscal_2_kernelILi256EDF16_ffPKPDF16_EviT2_lT3_lli.numbered_sgpr, 12
	.set _ZL22rocblas_sscal_2_kernelILi256EDF16_ffPKPDF16_EviT2_lT3_lli.num_named_barrier, 0
	.set _ZL22rocblas_sscal_2_kernelILi256EDF16_ffPKPDF16_EviT2_lT3_lli.private_seg_size, 0
	.set _ZL22rocblas_sscal_2_kernelILi256EDF16_ffPKPDF16_EviT2_lT3_lli.uses_vcc, 1
	.set _ZL22rocblas_sscal_2_kernelILi256EDF16_ffPKPDF16_EviT2_lT3_lli.uses_flat_scratch, 0
	.set _ZL22rocblas_sscal_2_kernelILi256EDF16_ffPKPDF16_EviT2_lT3_lli.has_dyn_sized_stack, 0
	.set _ZL22rocblas_sscal_2_kernelILi256EDF16_ffPKPDF16_EviT2_lT3_lli.has_recursion, 0
	.set _ZL22rocblas_sscal_2_kernelILi256EDF16_ffPKPDF16_EviT2_lT3_lli.has_indirect_call, 0
	.section	.AMDGPU.csdata,"",@progbits
; Kernel info:
; codeLenInByte = 260
; TotalNumSgprs: 16
; NumVgprs: 5
; ScratchSize: 0
; MemoryBound: 0
; FloatMode: 240
; IeeeMode: 1
; LDSByteSize: 0 bytes/workgroup (compile time only)
; SGPRBlocks: 1
; VGPRBlocks: 1
; NumSGPRsForWavesPerEU: 16
; NumVGPRsForWavesPerEU: 5
; Occupancy: 10
; WaveLimiterHint : 1
; COMPUTE_PGM_RSRC2:SCRATCH_EN: 0
; COMPUTE_PGM_RSRC2:USER_SGPR: 6
; COMPUTE_PGM_RSRC2:TRAP_HANDLER: 0
; COMPUTE_PGM_RSRC2:TGID_X_EN: 1
; COMPUTE_PGM_RSRC2:TGID_Y_EN: 0
; COMPUTE_PGM_RSRC2:TGID_Z_EN: 1
; COMPUTE_PGM_RSRC2:TIDIG_COMP_CNT: 0
	.section	.text._ZL19rocblas_scal_kernelIiLi256EDF16_fPKfPKPDF16_EviT3_lT4_lT_li,"axG",@progbits,_ZL19rocblas_scal_kernelIiLi256EDF16_fPKfPKPDF16_EviT3_lT4_lT_li,comdat
	.globl	_ZL19rocblas_scal_kernelIiLi256EDF16_fPKfPKPDF16_EviT3_lT4_lT_li ; -- Begin function _ZL19rocblas_scal_kernelIiLi256EDF16_fPKfPKPDF16_EviT3_lT4_lT_li
	.p2align	8
	.type	_ZL19rocblas_scal_kernelIiLi256EDF16_fPKfPKPDF16_EviT3_lT4_lT_li,@function
_ZL19rocblas_scal_kernelIiLi256EDF16_fPKfPKPDF16_EviT3_lT4_lT_li: ; @_ZL19rocblas_scal_kernelIiLi256EDF16_fPKfPKPDF16_EviT3_lT4_lT_li
; %bb.0:
	s_load_dwordx8 s[8:15], s[4:5], 0x8
	v_lshl_or_b32 v0, s6, 8, v0
	s_mov_b32 s0, s7
	s_waitcnt lgkmcnt(0)
	s_mul_i32 s1, s11, s7
	s_mul_hi_u32 s2, s10, s7
	s_add_i32 s3, s2, s1
	s_mul_i32 s2, s10, s7
	s_lshl_b64 s[2:3], s[2:3], 2
	s_add_u32 s8, s8, s2
	s_addc_u32 s9, s9, s3
	s_load_dword s2, s[8:9], 0x0
	s_load_dword s1, s[4:5], 0x0
	s_waitcnt lgkmcnt(0)
	v_cmp_neq_f32_e64 s[6:7], s2, 1.0
	v_cmp_gt_u32_e32 vcc, s1, v0
	s_and_b64 s[6:7], vcc, s[6:7]
	s_and_saveexec_b64 s[8:9], s[6:7]
	s_cbranch_execz .LBB108_2
; %bb.1:
	s_load_dword s3, s[4:5], 0x28
	s_mov_b32 s1, 0
	s_lshl_b64 s[0:1], s[0:1], 3
	s_waitcnt lgkmcnt(0)
	s_ashr_i32 s6, s3, 31
	v_mad_u64_u32 v[1:2], s[4:5], s3, v0, 0
	s_add_u32 s0, s12, s0
	s_addc_u32 s1, s13, s1
	s_load_dwordx2 s[0:1], s[0:1], 0x0
	v_mad_u64_u32 v[2:3], s[4:5], s6, v0, v[2:3]
	s_lshl_b64 s[4:5], s[14:15], 1
	s_waitcnt lgkmcnt(0)
	s_add_u32 s0, s0, s4
	v_lshlrev_b64 v[0:1], 1, v[1:2]
	s_addc_u32 s1, s1, s5
	v_mov_b32_e32 v2, s1
	v_add_co_u32_e32 v0, vcc, s0, v0
	v_addc_co_u32_e32 v1, vcc, v2, v1, vcc
	flat_load_ushort v2, v[0:1]
	s_waitcnt vmcnt(0) lgkmcnt(0)
	v_fma_mixlo_f16 v2, s2, v2, 0 op_sel_hi:[0,1,0]
	flat_store_short v[0:1], v2
.LBB108_2:
	s_endpgm
	.section	.rodata,"a",@progbits
	.p2align	6, 0x0
	.amdhsa_kernel _ZL19rocblas_scal_kernelIiLi256EDF16_fPKfPKPDF16_EviT3_lT4_lT_li
		.amdhsa_group_segment_fixed_size 0
		.amdhsa_private_segment_fixed_size 0
		.amdhsa_kernarg_size 60
		.amdhsa_user_sgpr_count 6
		.amdhsa_user_sgpr_private_segment_buffer 1
		.amdhsa_user_sgpr_dispatch_ptr 0
		.amdhsa_user_sgpr_queue_ptr 0
		.amdhsa_user_sgpr_kernarg_segment_ptr 1
		.amdhsa_user_sgpr_dispatch_id 0
		.amdhsa_user_sgpr_flat_scratch_init 0
		.amdhsa_user_sgpr_private_segment_size 0
		.amdhsa_uses_dynamic_stack 0
		.amdhsa_system_sgpr_private_segment_wavefront_offset 0
		.amdhsa_system_sgpr_workgroup_id_x 1
		.amdhsa_system_sgpr_workgroup_id_y 0
		.amdhsa_system_sgpr_workgroup_id_z 1
		.amdhsa_system_sgpr_workgroup_info 0
		.amdhsa_system_vgpr_workitem_id 0
		.amdhsa_next_free_vgpr 4
		.amdhsa_next_free_sgpr 16
		.amdhsa_reserve_vcc 1
		.amdhsa_reserve_flat_scratch 0
		.amdhsa_float_round_mode_32 0
		.amdhsa_float_round_mode_16_64 0
		.amdhsa_float_denorm_mode_32 3
		.amdhsa_float_denorm_mode_16_64 3
		.amdhsa_dx10_clamp 1
		.amdhsa_ieee_mode 1
		.amdhsa_fp16_overflow 0
		.amdhsa_exception_fp_ieee_invalid_op 0
		.amdhsa_exception_fp_denorm_src 0
		.amdhsa_exception_fp_ieee_div_zero 0
		.amdhsa_exception_fp_ieee_overflow 0
		.amdhsa_exception_fp_ieee_underflow 0
		.amdhsa_exception_fp_ieee_inexact 0
		.amdhsa_exception_int_div_zero 0
	.end_amdhsa_kernel
	.section	.text._ZL19rocblas_scal_kernelIiLi256EDF16_fPKfPKPDF16_EviT3_lT4_lT_li,"axG",@progbits,_ZL19rocblas_scal_kernelIiLi256EDF16_fPKfPKPDF16_EviT3_lT4_lT_li,comdat
.Lfunc_end108:
	.size	_ZL19rocblas_scal_kernelIiLi256EDF16_fPKfPKPDF16_EviT3_lT4_lT_li, .Lfunc_end108-_ZL19rocblas_scal_kernelIiLi256EDF16_fPKfPKPDF16_EviT3_lT4_lT_li
                                        ; -- End function
	.set _ZL19rocblas_scal_kernelIiLi256EDF16_fPKfPKPDF16_EviT3_lT4_lT_li.num_vgpr, 4
	.set _ZL19rocblas_scal_kernelIiLi256EDF16_fPKfPKPDF16_EviT3_lT4_lT_li.num_agpr, 0
	.set _ZL19rocblas_scal_kernelIiLi256EDF16_fPKfPKPDF16_EviT3_lT4_lT_li.numbered_sgpr, 16
	.set _ZL19rocblas_scal_kernelIiLi256EDF16_fPKfPKPDF16_EviT3_lT4_lT_li.num_named_barrier, 0
	.set _ZL19rocblas_scal_kernelIiLi256EDF16_fPKfPKPDF16_EviT3_lT4_lT_li.private_seg_size, 0
	.set _ZL19rocblas_scal_kernelIiLi256EDF16_fPKfPKPDF16_EviT3_lT4_lT_li.uses_vcc, 1
	.set _ZL19rocblas_scal_kernelIiLi256EDF16_fPKfPKPDF16_EviT3_lT4_lT_li.uses_flat_scratch, 0
	.set _ZL19rocblas_scal_kernelIiLi256EDF16_fPKfPKPDF16_EviT3_lT4_lT_li.has_dyn_sized_stack, 0
	.set _ZL19rocblas_scal_kernelIiLi256EDF16_fPKfPKPDF16_EviT3_lT4_lT_li.has_recursion, 0
	.set _ZL19rocblas_scal_kernelIiLi256EDF16_fPKfPKPDF16_EviT3_lT4_lT_li.has_indirect_call, 0
	.section	.AMDGPU.csdata,"",@progbits
; Kernel info:
; codeLenInByte = 220
; TotalNumSgprs: 20
; NumVgprs: 4
; ScratchSize: 0
; MemoryBound: 0
; FloatMode: 240
; IeeeMode: 1
; LDSByteSize: 0 bytes/workgroup (compile time only)
; SGPRBlocks: 2
; VGPRBlocks: 0
; NumSGPRsForWavesPerEU: 20
; NumVGPRsForWavesPerEU: 4
; Occupancy: 10
; WaveLimiterHint : 1
; COMPUTE_PGM_RSRC2:SCRATCH_EN: 0
; COMPUTE_PGM_RSRC2:USER_SGPR: 6
; COMPUTE_PGM_RSRC2:TRAP_HANDLER: 0
; COMPUTE_PGM_RSRC2:TGID_X_EN: 1
; COMPUTE_PGM_RSRC2:TGID_Y_EN: 0
; COMPUTE_PGM_RSRC2:TGID_Z_EN: 1
; COMPUTE_PGM_RSRC2:TIDIG_COMP_CNT: 0
	.section	.text._ZL19rocblas_scal_kernelIiLi256EDF16_ffPKPDF16_EviT3_lT4_lT_li,"axG",@progbits,_ZL19rocblas_scal_kernelIiLi256EDF16_ffPKPDF16_EviT3_lT4_lT_li,comdat
	.globl	_ZL19rocblas_scal_kernelIiLi256EDF16_ffPKPDF16_EviT3_lT4_lT_li ; -- Begin function _ZL19rocblas_scal_kernelIiLi256EDF16_ffPKPDF16_EviT3_lT4_lT_li
	.p2align	8
	.type	_ZL19rocblas_scal_kernelIiLi256EDF16_ffPKPDF16_EviT3_lT4_lT_li,@function
_ZL19rocblas_scal_kernelIiLi256EDF16_ffPKPDF16_EviT3_lT4_lT_li: ; @_ZL19rocblas_scal_kernelIiLi256EDF16_ffPKPDF16_EviT3_lT4_lT_li
; %bb.0:
	s_load_dwordx2 s[0:1], s[4:5], 0x0
	v_lshl_or_b32 v0, s6, 8, v0
	s_mov_b32 s2, s7
	s_waitcnt lgkmcnt(0)
	v_cmp_neq_f32_e64 s[6:7], s1, 1.0
	v_cmp_gt_u32_e32 vcc, s0, v0
	s_and_b64 s[6:7], vcc, s[6:7]
	s_and_saveexec_b64 s[8:9], s[6:7]
	s_cbranch_execz .LBB109_2
; %bb.1:
	s_load_dword s0, s[4:5], 0x20
	s_load_dwordx4 s[8:11], s[4:5], 0x10
	s_mov_b32 s3, 0
	s_lshl_b64 s[2:3], s[2:3], 3
	s_waitcnt lgkmcnt(0)
	s_ashr_i32 s6, s0, 31
	v_mad_u64_u32 v[1:2], s[4:5], s0, v0, 0
	s_add_u32 s2, s8, s2
	s_addc_u32 s3, s9, s3
	s_load_dwordx2 s[2:3], s[2:3], 0x0
	v_mad_u64_u32 v[2:3], s[4:5], s6, v0, v[2:3]
	s_lshl_b64 s[4:5], s[10:11], 1
	s_waitcnt lgkmcnt(0)
	s_add_u32 s0, s2, s4
	v_lshlrev_b64 v[0:1], 1, v[1:2]
	s_addc_u32 s2, s3, s5
	v_mov_b32_e32 v2, s2
	v_add_co_u32_e32 v0, vcc, s0, v0
	v_addc_co_u32_e32 v1, vcc, v2, v1, vcc
	flat_load_ushort v2, v[0:1]
	s_waitcnt vmcnt(0) lgkmcnt(0)
	v_fma_mixlo_f16 v2, s1, v2, 0 op_sel_hi:[0,1,0]
	flat_store_short v[0:1], v2
.LBB109_2:
	s_endpgm
	.section	.rodata,"a",@progbits
	.p2align	6, 0x0
	.amdhsa_kernel _ZL19rocblas_scal_kernelIiLi256EDF16_ffPKPDF16_EviT3_lT4_lT_li
		.amdhsa_group_segment_fixed_size 0
		.amdhsa_private_segment_fixed_size 0
		.amdhsa_kernarg_size 52
		.amdhsa_user_sgpr_count 6
		.amdhsa_user_sgpr_private_segment_buffer 1
		.amdhsa_user_sgpr_dispatch_ptr 0
		.amdhsa_user_sgpr_queue_ptr 0
		.amdhsa_user_sgpr_kernarg_segment_ptr 1
		.amdhsa_user_sgpr_dispatch_id 0
		.amdhsa_user_sgpr_flat_scratch_init 0
		.amdhsa_user_sgpr_private_segment_size 0
		.amdhsa_uses_dynamic_stack 0
		.amdhsa_system_sgpr_private_segment_wavefront_offset 0
		.amdhsa_system_sgpr_workgroup_id_x 1
		.amdhsa_system_sgpr_workgroup_id_y 0
		.amdhsa_system_sgpr_workgroup_id_z 1
		.amdhsa_system_sgpr_workgroup_info 0
		.amdhsa_system_vgpr_workitem_id 0
		.amdhsa_next_free_vgpr 4
		.amdhsa_next_free_sgpr 12
		.amdhsa_reserve_vcc 1
		.amdhsa_reserve_flat_scratch 0
		.amdhsa_float_round_mode_32 0
		.amdhsa_float_round_mode_16_64 0
		.amdhsa_float_denorm_mode_32 3
		.amdhsa_float_denorm_mode_16_64 3
		.amdhsa_dx10_clamp 1
		.amdhsa_ieee_mode 1
		.amdhsa_fp16_overflow 0
		.amdhsa_exception_fp_ieee_invalid_op 0
		.amdhsa_exception_fp_denorm_src 0
		.amdhsa_exception_fp_ieee_div_zero 0
		.amdhsa_exception_fp_ieee_overflow 0
		.amdhsa_exception_fp_ieee_underflow 0
		.amdhsa_exception_fp_ieee_inexact 0
		.amdhsa_exception_int_div_zero 0
	.end_amdhsa_kernel
	.section	.text._ZL19rocblas_scal_kernelIiLi256EDF16_ffPKPDF16_EviT3_lT4_lT_li,"axG",@progbits,_ZL19rocblas_scal_kernelIiLi256EDF16_ffPKPDF16_EviT3_lT4_lT_li,comdat
.Lfunc_end109:
	.size	_ZL19rocblas_scal_kernelIiLi256EDF16_ffPKPDF16_EviT3_lT4_lT_li, .Lfunc_end109-_ZL19rocblas_scal_kernelIiLi256EDF16_ffPKPDF16_EviT3_lT4_lT_li
                                        ; -- End function
	.set _ZL19rocblas_scal_kernelIiLi256EDF16_ffPKPDF16_EviT3_lT4_lT_li.num_vgpr, 4
	.set _ZL19rocblas_scal_kernelIiLi256EDF16_ffPKPDF16_EviT3_lT4_lT_li.num_agpr, 0
	.set _ZL19rocblas_scal_kernelIiLi256EDF16_ffPKPDF16_EviT3_lT4_lT_li.numbered_sgpr, 12
	.set _ZL19rocblas_scal_kernelIiLi256EDF16_ffPKPDF16_EviT3_lT4_lT_li.num_named_barrier, 0
	.set _ZL19rocblas_scal_kernelIiLi256EDF16_ffPKPDF16_EviT3_lT4_lT_li.private_seg_size, 0
	.set _ZL19rocblas_scal_kernelIiLi256EDF16_ffPKPDF16_EviT3_lT4_lT_li.uses_vcc, 1
	.set _ZL19rocblas_scal_kernelIiLi256EDF16_ffPKPDF16_EviT3_lT4_lT_li.uses_flat_scratch, 0
	.set _ZL19rocblas_scal_kernelIiLi256EDF16_ffPKPDF16_EviT3_lT4_lT_li.has_dyn_sized_stack, 0
	.set _ZL19rocblas_scal_kernelIiLi256EDF16_ffPKPDF16_EviT3_lT4_lT_li.has_recursion, 0
	.set _ZL19rocblas_scal_kernelIiLi256EDF16_ffPKPDF16_EviT3_lT4_lT_li.has_indirect_call, 0
	.section	.AMDGPU.csdata,"",@progbits
; Kernel info:
; codeLenInByte = 180
; TotalNumSgprs: 16
; NumVgprs: 4
; ScratchSize: 0
; MemoryBound: 0
; FloatMode: 240
; IeeeMode: 1
; LDSByteSize: 0 bytes/workgroup (compile time only)
; SGPRBlocks: 1
; VGPRBlocks: 0
; NumSGPRsForWavesPerEU: 16
; NumVGPRsForWavesPerEU: 4
; Occupancy: 10
; WaveLimiterHint : 1
; COMPUTE_PGM_RSRC2:SCRATCH_EN: 0
; COMPUTE_PGM_RSRC2:USER_SGPR: 6
; COMPUTE_PGM_RSRC2:TRAP_HANDLER: 0
; COMPUTE_PGM_RSRC2:TGID_X_EN: 1
; COMPUTE_PGM_RSRC2:TGID_Y_EN: 0
; COMPUTE_PGM_RSRC2:TGID_Z_EN: 1
; COMPUTE_PGM_RSRC2:TIDIG_COMP_CNT: 0
	.section	.text._ZL19rocblas_scal_kernelIlLi256EDF16_fPKfPKPDF16_EviT3_lT4_lT_li,"axG",@progbits,_ZL19rocblas_scal_kernelIlLi256EDF16_fPKfPKPDF16_EviT3_lT4_lT_li,comdat
	.globl	_ZL19rocblas_scal_kernelIlLi256EDF16_fPKfPKPDF16_EviT3_lT4_lT_li ; -- Begin function _ZL19rocblas_scal_kernelIlLi256EDF16_fPKfPKPDF16_EviT3_lT4_lT_li
	.p2align	8
	.type	_ZL19rocblas_scal_kernelIlLi256EDF16_fPKfPKPDF16_EviT3_lT4_lT_li,@function
_ZL19rocblas_scal_kernelIlLi256EDF16_fPKfPKPDF16_EviT3_lT4_lT_li: ; @_ZL19rocblas_scal_kernelIlLi256EDF16_fPKfPKPDF16_EviT3_lT4_lT_li
; %bb.0:
	s_load_dwordx8 s[8:15], s[4:5], 0x8
	v_lshl_or_b32 v0, s6, 8, v0
	s_mov_b32 s0, s7
	s_waitcnt lgkmcnt(0)
	s_mul_i32 s1, s11, s7
	s_mul_hi_u32 s2, s10, s7
	s_add_i32 s3, s2, s1
	s_mul_i32 s2, s10, s7
	s_lshl_b64 s[2:3], s[2:3], 2
	s_add_u32 s8, s8, s2
	s_addc_u32 s9, s9, s3
	s_load_dword s2, s[8:9], 0x0
	s_load_dword s1, s[4:5], 0x0
	s_waitcnt lgkmcnt(0)
	v_cmp_neq_f32_e64 s[6:7], s2, 1.0
	v_cmp_gt_u32_e32 vcc, s1, v0
	s_and_b64 s[6:7], vcc, s[6:7]
	s_and_saveexec_b64 s[8:9], s[6:7]
	s_cbranch_execz .LBB110_2
; %bb.1:
	s_load_dwordx2 s[4:5], s[4:5], 0x28
	s_mov_b32 s1, 0
	s_lshl_b64 s[0:1], s[0:1], 3
	s_add_u32 s0, s12, s0
	s_addc_u32 s1, s13, s1
	s_waitcnt lgkmcnt(0)
	v_mad_u64_u32 v[1:2], s[6:7], s4, v0, 0
	s_load_dwordx2 s[0:1], s[0:1], 0x0
	v_mad_u64_u32 v[2:3], s[4:5], s5, v0, v[2:3]
	s_lshl_b64 s[4:5], s[14:15], 1
	s_waitcnt lgkmcnt(0)
	s_add_u32 s0, s0, s4
	v_lshlrev_b64 v[0:1], 1, v[1:2]
	s_addc_u32 s1, s1, s5
	v_mov_b32_e32 v2, s1
	v_add_co_u32_e32 v0, vcc, s0, v0
	v_addc_co_u32_e32 v1, vcc, v2, v1, vcc
	flat_load_ushort v2, v[0:1]
	s_waitcnt vmcnt(0) lgkmcnt(0)
	v_fma_mixlo_f16 v2, s2, v2, 0 op_sel_hi:[0,1,0]
	flat_store_short v[0:1], v2
.LBB110_2:
	s_endpgm
	.section	.rodata,"a",@progbits
	.p2align	6, 0x0
	.amdhsa_kernel _ZL19rocblas_scal_kernelIlLi256EDF16_fPKfPKPDF16_EviT3_lT4_lT_li
		.amdhsa_group_segment_fixed_size 0
		.amdhsa_private_segment_fixed_size 0
		.amdhsa_kernarg_size 60
		.amdhsa_user_sgpr_count 6
		.amdhsa_user_sgpr_private_segment_buffer 1
		.amdhsa_user_sgpr_dispatch_ptr 0
		.amdhsa_user_sgpr_queue_ptr 0
		.amdhsa_user_sgpr_kernarg_segment_ptr 1
		.amdhsa_user_sgpr_dispatch_id 0
		.amdhsa_user_sgpr_flat_scratch_init 0
		.amdhsa_user_sgpr_private_segment_size 0
		.amdhsa_uses_dynamic_stack 0
		.amdhsa_system_sgpr_private_segment_wavefront_offset 0
		.amdhsa_system_sgpr_workgroup_id_x 1
		.amdhsa_system_sgpr_workgroup_id_y 0
		.amdhsa_system_sgpr_workgroup_id_z 1
		.amdhsa_system_sgpr_workgroup_info 0
		.amdhsa_system_vgpr_workitem_id 0
		.amdhsa_next_free_vgpr 4
		.amdhsa_next_free_sgpr 16
		.amdhsa_reserve_vcc 1
		.amdhsa_reserve_flat_scratch 0
		.amdhsa_float_round_mode_32 0
		.amdhsa_float_round_mode_16_64 0
		.amdhsa_float_denorm_mode_32 3
		.amdhsa_float_denorm_mode_16_64 3
		.amdhsa_dx10_clamp 1
		.amdhsa_ieee_mode 1
		.amdhsa_fp16_overflow 0
		.amdhsa_exception_fp_ieee_invalid_op 0
		.amdhsa_exception_fp_denorm_src 0
		.amdhsa_exception_fp_ieee_div_zero 0
		.amdhsa_exception_fp_ieee_overflow 0
		.amdhsa_exception_fp_ieee_underflow 0
		.amdhsa_exception_fp_ieee_inexact 0
		.amdhsa_exception_int_div_zero 0
	.end_amdhsa_kernel
	.section	.text._ZL19rocblas_scal_kernelIlLi256EDF16_fPKfPKPDF16_EviT3_lT4_lT_li,"axG",@progbits,_ZL19rocblas_scal_kernelIlLi256EDF16_fPKfPKPDF16_EviT3_lT4_lT_li,comdat
.Lfunc_end110:
	.size	_ZL19rocblas_scal_kernelIlLi256EDF16_fPKfPKPDF16_EviT3_lT4_lT_li, .Lfunc_end110-_ZL19rocblas_scal_kernelIlLi256EDF16_fPKfPKPDF16_EviT3_lT4_lT_li
                                        ; -- End function
	.set _ZL19rocblas_scal_kernelIlLi256EDF16_fPKfPKPDF16_EviT3_lT4_lT_li.num_vgpr, 4
	.set _ZL19rocblas_scal_kernelIlLi256EDF16_fPKfPKPDF16_EviT3_lT4_lT_li.num_agpr, 0
	.set _ZL19rocblas_scal_kernelIlLi256EDF16_fPKfPKPDF16_EviT3_lT4_lT_li.numbered_sgpr, 16
	.set _ZL19rocblas_scal_kernelIlLi256EDF16_fPKfPKPDF16_EviT3_lT4_lT_li.num_named_barrier, 0
	.set _ZL19rocblas_scal_kernelIlLi256EDF16_fPKfPKPDF16_EviT3_lT4_lT_li.private_seg_size, 0
	.set _ZL19rocblas_scal_kernelIlLi256EDF16_fPKfPKPDF16_EviT3_lT4_lT_li.uses_vcc, 1
	.set _ZL19rocblas_scal_kernelIlLi256EDF16_fPKfPKPDF16_EviT3_lT4_lT_li.uses_flat_scratch, 0
	.set _ZL19rocblas_scal_kernelIlLi256EDF16_fPKfPKPDF16_EviT3_lT4_lT_li.has_dyn_sized_stack, 0
	.set _ZL19rocblas_scal_kernelIlLi256EDF16_fPKfPKPDF16_EviT3_lT4_lT_li.has_recursion, 0
	.set _ZL19rocblas_scal_kernelIlLi256EDF16_fPKfPKPDF16_EviT3_lT4_lT_li.has_indirect_call, 0
	.section	.AMDGPU.csdata,"",@progbits
; Kernel info:
; codeLenInByte = 216
; TotalNumSgprs: 20
; NumVgprs: 4
; ScratchSize: 0
; MemoryBound: 0
; FloatMode: 240
; IeeeMode: 1
; LDSByteSize: 0 bytes/workgroup (compile time only)
; SGPRBlocks: 2
; VGPRBlocks: 0
; NumSGPRsForWavesPerEU: 20
; NumVGPRsForWavesPerEU: 4
; Occupancy: 10
; WaveLimiterHint : 1
; COMPUTE_PGM_RSRC2:SCRATCH_EN: 0
; COMPUTE_PGM_RSRC2:USER_SGPR: 6
; COMPUTE_PGM_RSRC2:TRAP_HANDLER: 0
; COMPUTE_PGM_RSRC2:TGID_X_EN: 1
; COMPUTE_PGM_RSRC2:TGID_Y_EN: 0
; COMPUTE_PGM_RSRC2:TGID_Z_EN: 1
; COMPUTE_PGM_RSRC2:TIDIG_COMP_CNT: 0
	.section	.text._ZL19rocblas_scal_kernelIlLi256EDF16_ffPKPDF16_EviT3_lT4_lT_li,"axG",@progbits,_ZL19rocblas_scal_kernelIlLi256EDF16_ffPKPDF16_EviT3_lT4_lT_li,comdat
	.globl	_ZL19rocblas_scal_kernelIlLi256EDF16_ffPKPDF16_EviT3_lT4_lT_li ; -- Begin function _ZL19rocblas_scal_kernelIlLi256EDF16_ffPKPDF16_EviT3_lT4_lT_li
	.p2align	8
	.type	_ZL19rocblas_scal_kernelIlLi256EDF16_ffPKPDF16_EviT3_lT4_lT_li,@function
_ZL19rocblas_scal_kernelIlLi256EDF16_ffPKPDF16_EviT3_lT4_lT_li: ; @_ZL19rocblas_scal_kernelIlLi256EDF16_ffPKPDF16_EviT3_lT4_lT_li
; %bb.0:
	s_load_dwordx2 s[0:1], s[4:5], 0x0
	v_lshl_or_b32 v0, s6, 8, v0
	s_mov_b32 s2, s7
	s_waitcnt lgkmcnt(0)
	v_cmp_neq_f32_e64 s[6:7], s1, 1.0
	v_cmp_gt_u32_e32 vcc, s0, v0
	s_and_b64 s[6:7], vcc, s[6:7]
	s_and_saveexec_b64 s[8:9], s[6:7]
	s_cbranch_execz .LBB111_2
; %bb.1:
	s_load_dwordx2 s[6:7], s[4:5], 0x20
	s_load_dwordx4 s[8:11], s[4:5], 0x10
	s_mov_b32 s3, 0
	s_lshl_b64 s[2:3], s[2:3], 3
	s_waitcnt lgkmcnt(0)
	v_mad_u64_u32 v[1:2], s[4:5], s6, v0, 0
	s_add_u32 s2, s8, s2
	s_addc_u32 s3, s9, s3
	s_load_dwordx2 s[2:3], s[2:3], 0x0
	v_mad_u64_u32 v[2:3], s[4:5], s7, v0, v[2:3]
	s_lshl_b64 s[4:5], s[10:11], 1
	s_waitcnt lgkmcnt(0)
	s_add_u32 s0, s2, s4
	v_lshlrev_b64 v[0:1], 1, v[1:2]
	s_addc_u32 s2, s3, s5
	v_mov_b32_e32 v2, s2
	v_add_co_u32_e32 v0, vcc, s0, v0
	v_addc_co_u32_e32 v1, vcc, v2, v1, vcc
	flat_load_ushort v2, v[0:1]
	s_waitcnt vmcnt(0) lgkmcnt(0)
	v_fma_mixlo_f16 v2, s1, v2, 0 op_sel_hi:[0,1,0]
	flat_store_short v[0:1], v2
.LBB111_2:
	s_endpgm
	.section	.rodata,"a",@progbits
	.p2align	6, 0x0
	.amdhsa_kernel _ZL19rocblas_scal_kernelIlLi256EDF16_ffPKPDF16_EviT3_lT4_lT_li
		.amdhsa_group_segment_fixed_size 0
		.amdhsa_private_segment_fixed_size 0
		.amdhsa_kernarg_size 52
		.amdhsa_user_sgpr_count 6
		.amdhsa_user_sgpr_private_segment_buffer 1
		.amdhsa_user_sgpr_dispatch_ptr 0
		.amdhsa_user_sgpr_queue_ptr 0
		.amdhsa_user_sgpr_kernarg_segment_ptr 1
		.amdhsa_user_sgpr_dispatch_id 0
		.amdhsa_user_sgpr_flat_scratch_init 0
		.amdhsa_user_sgpr_private_segment_size 0
		.amdhsa_uses_dynamic_stack 0
		.amdhsa_system_sgpr_private_segment_wavefront_offset 0
		.amdhsa_system_sgpr_workgroup_id_x 1
		.amdhsa_system_sgpr_workgroup_id_y 0
		.amdhsa_system_sgpr_workgroup_id_z 1
		.amdhsa_system_sgpr_workgroup_info 0
		.amdhsa_system_vgpr_workitem_id 0
		.amdhsa_next_free_vgpr 4
		.amdhsa_next_free_sgpr 12
		.amdhsa_reserve_vcc 1
		.amdhsa_reserve_flat_scratch 0
		.amdhsa_float_round_mode_32 0
		.amdhsa_float_round_mode_16_64 0
		.amdhsa_float_denorm_mode_32 3
		.amdhsa_float_denorm_mode_16_64 3
		.amdhsa_dx10_clamp 1
		.amdhsa_ieee_mode 1
		.amdhsa_fp16_overflow 0
		.amdhsa_exception_fp_ieee_invalid_op 0
		.amdhsa_exception_fp_denorm_src 0
		.amdhsa_exception_fp_ieee_div_zero 0
		.amdhsa_exception_fp_ieee_overflow 0
		.amdhsa_exception_fp_ieee_underflow 0
		.amdhsa_exception_fp_ieee_inexact 0
		.amdhsa_exception_int_div_zero 0
	.end_amdhsa_kernel
	.section	.text._ZL19rocblas_scal_kernelIlLi256EDF16_ffPKPDF16_EviT3_lT4_lT_li,"axG",@progbits,_ZL19rocblas_scal_kernelIlLi256EDF16_ffPKPDF16_EviT3_lT4_lT_li,comdat
.Lfunc_end111:
	.size	_ZL19rocblas_scal_kernelIlLi256EDF16_ffPKPDF16_EviT3_lT4_lT_li, .Lfunc_end111-_ZL19rocblas_scal_kernelIlLi256EDF16_ffPKPDF16_EviT3_lT4_lT_li
                                        ; -- End function
	.set _ZL19rocblas_scal_kernelIlLi256EDF16_ffPKPDF16_EviT3_lT4_lT_li.num_vgpr, 4
	.set _ZL19rocblas_scal_kernelIlLi256EDF16_ffPKPDF16_EviT3_lT4_lT_li.num_agpr, 0
	.set _ZL19rocblas_scal_kernelIlLi256EDF16_ffPKPDF16_EviT3_lT4_lT_li.numbered_sgpr, 12
	.set _ZL19rocblas_scal_kernelIlLi256EDF16_ffPKPDF16_EviT3_lT4_lT_li.num_named_barrier, 0
	.set _ZL19rocblas_scal_kernelIlLi256EDF16_ffPKPDF16_EviT3_lT4_lT_li.private_seg_size, 0
	.set _ZL19rocblas_scal_kernelIlLi256EDF16_ffPKPDF16_EviT3_lT4_lT_li.uses_vcc, 1
	.set _ZL19rocblas_scal_kernelIlLi256EDF16_ffPKPDF16_EviT3_lT4_lT_li.uses_flat_scratch, 0
	.set _ZL19rocblas_scal_kernelIlLi256EDF16_ffPKPDF16_EviT3_lT4_lT_li.has_dyn_sized_stack, 0
	.set _ZL19rocblas_scal_kernelIlLi256EDF16_ffPKPDF16_EviT3_lT4_lT_li.has_recursion, 0
	.set _ZL19rocblas_scal_kernelIlLi256EDF16_ffPKPDF16_EviT3_lT4_lT_li.has_indirect_call, 0
	.section	.AMDGPU.csdata,"",@progbits
; Kernel info:
; codeLenInByte = 176
; TotalNumSgprs: 16
; NumVgprs: 4
; ScratchSize: 0
; MemoryBound: 0
; FloatMode: 240
; IeeeMode: 1
; LDSByteSize: 0 bytes/workgroup (compile time only)
; SGPRBlocks: 1
; VGPRBlocks: 0
; NumSGPRsForWavesPerEU: 16
; NumVGPRsForWavesPerEU: 4
; Occupancy: 10
; WaveLimiterHint : 1
; COMPUTE_PGM_RSRC2:SCRATCH_EN: 0
; COMPUTE_PGM_RSRC2:USER_SGPR: 6
; COMPUTE_PGM_RSRC2:TRAP_HANDLER: 0
; COMPUTE_PGM_RSRC2:TGID_X_EN: 1
; COMPUTE_PGM_RSRC2:TGID_Y_EN: 0
; COMPUTE_PGM_RSRC2:TGID_Z_EN: 1
; COMPUTE_PGM_RSRC2:TIDIG_COMP_CNT: 0
	.section	.text._ZL22rocblas_sscal_2_kernelILi256E16rocblas_bfloat16fPKS0_PKPS0_EviT2_lT3_lli,"axG",@progbits,_ZL22rocblas_sscal_2_kernelILi256E16rocblas_bfloat16fPKS0_PKPS0_EviT2_lT3_lli,comdat
	.globl	_ZL22rocblas_sscal_2_kernelILi256E16rocblas_bfloat16fPKS0_PKPS0_EviT2_lT3_lli ; -- Begin function _ZL22rocblas_sscal_2_kernelILi256E16rocblas_bfloat16fPKS0_PKPS0_EviT2_lT3_lli
	.p2align	8
	.type	_ZL22rocblas_sscal_2_kernelILi256E16rocblas_bfloat16fPKS0_PKPS0_EviT2_lT3_lli,@function
_ZL22rocblas_sscal_2_kernelILi256E16rocblas_bfloat16fPKS0_PKPS0_EviT2_lT3_lli: ; @_ZL22rocblas_sscal_2_kernelILi256E16rocblas_bfloat16fPKS0_PKPS0_EviT2_lT3_lli
; %bb.0:
	s_load_dwordx4 s[8:11], s[4:5], 0x8
	v_mov_b32_e32 v1, 0
	s_waitcnt lgkmcnt(0)
	s_mul_i32 s1, s11, s7
	s_mul_hi_u32 s2, s10, s7
	s_add_i32 s3, s2, s1
	s_mul_i32 s2, s10, s7
	s_lshl_b64 s[2:3], s[2:3], 1
	s_add_u32 s2, s8, s2
	s_addc_u32 s3, s9, s3
	global_load_ushort v1, v1, s[2:3]
	s_waitcnt vmcnt(0)
	v_lshlrev_b32_e32 v3, 16, v1
	v_cmp_eq_f32_e32 vcc, 1.0, v3
	s_cbranch_vccnz .LBB112_17
; %bb.1:
	s_load_dwordx4 s[8:11], s[4:5], 0x18
	s_mov_b32 s0, s7
	s_mov_b32 s1, 0
	s_lshl_b64 s[0:1], s[0:1], 3
	s_load_dword s4, s[4:5], 0x0
	s_waitcnt lgkmcnt(0)
	s_add_u32 s0, s8, s0
	s_addc_u32 s1, s9, s1
	s_load_dwordx2 s[0:1], s[0:1], 0x0
	v_lshlrev_b32_e32 v0, 1, v0
	v_lshl_or_b32 v0, s6, 9, v0
	s_lshl_b64 s[2:3], s[10:11], 1
	v_or_b32_e32 v1, 1, v0
	s_waitcnt lgkmcnt(0)
	s_add_u32 s5, s0, s2
	s_addc_u32 s6, s1, s3
	v_cmp_gt_u32_e32 vcc, s4, v1
	s_and_saveexec_b64 s[0:1], vcc
	s_cbranch_execz .LBB112_11
; %bb.2:
	v_mov_b32_e32 v1, 0
	v_lshlrev_b64 v[1:2], 1, v[0:1]
	v_mov_b32_e32 v4, s6
	v_add_co_u32_e32 v1, vcc, s5, v1
	v_addc_co_u32_e32 v2, vcc, v4, v2, vcc
	flat_load_ushort v4, v[1:2]
	s_mov_b32 s2, 0x7f800000
	s_waitcnt vmcnt(0) lgkmcnt(0)
	v_lshlrev_b32_e32 v4, 16, v4
	v_mul_f32_e32 v4, v3, v4
	v_and_b32_e32 v5, 0x7f800000, v4
	v_cmp_ne_u32_e32 vcc, s2, v5
                                        ; implicit-def: $vgpr5
	s_and_saveexec_b64 s[2:3], vcc
	s_xor_b64 s[2:3], exec, s[2:3]
; %bb.3:
	v_bfe_u32 v5, v4, 16, 1
	s_movk_i32 s7, 0x7fff
	v_add3_u32 v5, v4, v5, s7
                                        ; implicit-def: $vgpr4
; %bb.4:
	s_andn2_saveexec_b64 s[2:3], s[2:3]
; %bb.5:
	v_mov_b32_e32 v5, 0
	v_or_b32_e32 v6, 0x10000, v4
	v_cmp_eq_u32_sdwa vcc, v4, v5 src0_sel:WORD_0 src1_sel:DWORD
	v_cndmask_b32_e32 v5, v6, v4, vcc
; %bb.6:
	s_or_b64 exec, exec, s[2:3]
	flat_load_ushort v4, v[1:2] offset:2
	s_mov_b32 s2, 0x7f800000
	flat_store_short_d16_hi v[1:2], v5
	s_waitcnt vmcnt(0) lgkmcnt(0)
	v_lshlrev_b32_e32 v4, 16, v4
	v_mul_f32_e32 v4, v3, v4
	v_and_b32_e32 v5, 0x7f800000, v4
	v_cmp_ne_u32_e32 vcc, s2, v5
                                        ; implicit-def: $vgpr5
	s_and_saveexec_b64 s[2:3], vcc
	s_xor_b64 s[2:3], exec, s[2:3]
; %bb.7:
	v_bfe_u32 v5, v4, 16, 1
	s_movk_i32 s7, 0x7fff
	v_add3_u32 v5, v4, v5, s7
                                        ; implicit-def: $vgpr4
; %bb.8:
	s_andn2_saveexec_b64 s[2:3], s[2:3]
; %bb.9:
	v_mov_b32_e32 v5, 0
	v_or_b32_e32 v6, 0x10000, v4
	v_cmp_eq_u32_sdwa vcc, v4, v5 src0_sel:WORD_0 src1_sel:DWORD
	v_cndmask_b32_e32 v5, v6, v4, vcc
; %bb.10:
	s_or_b64 exec, exec, s[2:3]
	flat_store_short_d16_hi v[1:2], v5 offset:2
.LBB112_11:
	s_or_b64 exec, exec, s[0:1]
	s_bitcmp1_b32 s4, 0
	s_cselect_b64 s[0:1], -1, 0
	s_add_i32 s4, s4, -1
	v_cmp_eq_u32_e32 vcc, s4, v0
	s_and_b64 s[0:1], s[0:1], vcc
	s_and_saveexec_b64 s[2:3], s[0:1]
	s_cbranch_execz .LBB112_17
; %bb.12:
	v_mov_b32_e32 v1, 0
	v_lshlrev_b64 v[0:1], 1, v[0:1]
	v_mov_b32_e32 v2, s6
	v_add_co_u32_e32 v0, vcc, s5, v0
	v_addc_co_u32_e32 v1, vcc, v2, v1, vcc
	flat_load_ushort v2, v[0:1]
	s_mov_b32 s0, 0x7f800000
	s_waitcnt vmcnt(0) lgkmcnt(0)
	v_lshlrev_b32_e32 v2, 16, v2
	v_mul_f32_e32 v2, v3, v2
	v_and_b32_e32 v3, 0x7f800000, v2
	v_cmp_ne_u32_e32 vcc, s0, v3
                                        ; implicit-def: $vgpr3
	s_and_saveexec_b64 s[0:1], vcc
	s_xor_b64 s[0:1], exec, s[0:1]
; %bb.13:
	v_bfe_u32 v3, v2, 16, 1
	s_movk_i32 s2, 0x7fff
	v_add3_u32 v3, v2, v3, s2
                                        ; implicit-def: $vgpr2
; %bb.14:
	s_andn2_saveexec_b64 s[0:1], s[0:1]
; %bb.15:
	v_mov_b32_e32 v3, 0
	v_or_b32_e32 v4, 0x10000, v2
	v_cmp_eq_u32_sdwa vcc, v2, v3 src0_sel:WORD_0 src1_sel:DWORD
	v_cndmask_b32_e32 v3, v4, v2, vcc
; %bb.16:
	s_or_b64 exec, exec, s[0:1]
	flat_store_short_d16_hi v[0:1], v3
.LBB112_17:
	s_endpgm
	.section	.rodata,"a",@progbits
	.p2align	6, 0x0
	.amdhsa_kernel _ZL22rocblas_sscal_2_kernelILi256E16rocblas_bfloat16fPKS0_PKPS0_EviT2_lT3_lli
		.amdhsa_group_segment_fixed_size 0
		.amdhsa_private_segment_fixed_size 0
		.amdhsa_kernarg_size 52
		.amdhsa_user_sgpr_count 6
		.amdhsa_user_sgpr_private_segment_buffer 1
		.amdhsa_user_sgpr_dispatch_ptr 0
		.amdhsa_user_sgpr_queue_ptr 0
		.amdhsa_user_sgpr_kernarg_segment_ptr 1
		.amdhsa_user_sgpr_dispatch_id 0
		.amdhsa_user_sgpr_flat_scratch_init 0
		.amdhsa_user_sgpr_private_segment_size 0
		.amdhsa_uses_dynamic_stack 0
		.amdhsa_system_sgpr_private_segment_wavefront_offset 0
		.amdhsa_system_sgpr_workgroup_id_x 1
		.amdhsa_system_sgpr_workgroup_id_y 0
		.amdhsa_system_sgpr_workgroup_id_z 1
		.amdhsa_system_sgpr_workgroup_info 0
		.amdhsa_system_vgpr_workitem_id 0
		.amdhsa_next_free_vgpr 7
		.amdhsa_next_free_sgpr 12
		.amdhsa_reserve_vcc 1
		.amdhsa_reserve_flat_scratch 0
		.amdhsa_float_round_mode_32 0
		.amdhsa_float_round_mode_16_64 0
		.amdhsa_float_denorm_mode_32 3
		.amdhsa_float_denorm_mode_16_64 3
		.amdhsa_dx10_clamp 1
		.amdhsa_ieee_mode 1
		.amdhsa_fp16_overflow 0
		.amdhsa_exception_fp_ieee_invalid_op 0
		.amdhsa_exception_fp_denorm_src 0
		.amdhsa_exception_fp_ieee_div_zero 0
		.amdhsa_exception_fp_ieee_overflow 0
		.amdhsa_exception_fp_ieee_underflow 0
		.amdhsa_exception_fp_ieee_inexact 0
		.amdhsa_exception_int_div_zero 0
	.end_amdhsa_kernel
	.section	.text._ZL22rocblas_sscal_2_kernelILi256E16rocblas_bfloat16fPKS0_PKPS0_EviT2_lT3_lli,"axG",@progbits,_ZL22rocblas_sscal_2_kernelILi256E16rocblas_bfloat16fPKS0_PKPS0_EviT2_lT3_lli,comdat
.Lfunc_end112:
	.size	_ZL22rocblas_sscal_2_kernelILi256E16rocblas_bfloat16fPKS0_PKPS0_EviT2_lT3_lli, .Lfunc_end112-_ZL22rocblas_sscal_2_kernelILi256E16rocblas_bfloat16fPKS0_PKPS0_EviT2_lT3_lli
                                        ; -- End function
	.set _ZL22rocblas_sscal_2_kernelILi256E16rocblas_bfloat16fPKS0_PKPS0_EviT2_lT3_lli.num_vgpr, 7
	.set _ZL22rocblas_sscal_2_kernelILi256E16rocblas_bfloat16fPKS0_PKPS0_EviT2_lT3_lli.num_agpr, 0
	.set _ZL22rocblas_sscal_2_kernelILi256E16rocblas_bfloat16fPKS0_PKPS0_EviT2_lT3_lli.numbered_sgpr, 12
	.set _ZL22rocblas_sscal_2_kernelILi256E16rocblas_bfloat16fPKS0_PKPS0_EviT2_lT3_lli.num_named_barrier, 0
	.set _ZL22rocblas_sscal_2_kernelILi256E16rocblas_bfloat16fPKS0_PKPS0_EviT2_lT3_lli.private_seg_size, 0
	.set _ZL22rocblas_sscal_2_kernelILi256E16rocblas_bfloat16fPKS0_PKPS0_EviT2_lT3_lli.uses_vcc, 1
	.set _ZL22rocblas_sscal_2_kernelILi256E16rocblas_bfloat16fPKS0_PKPS0_EviT2_lT3_lli.uses_flat_scratch, 0
	.set _ZL22rocblas_sscal_2_kernelILi256E16rocblas_bfloat16fPKS0_PKPS0_EviT2_lT3_lli.has_dyn_sized_stack, 0
	.set _ZL22rocblas_sscal_2_kernelILi256E16rocblas_bfloat16fPKS0_PKPS0_EviT2_lT3_lli.has_recursion, 0
	.set _ZL22rocblas_sscal_2_kernelILi256E16rocblas_bfloat16fPKS0_PKPS0_EviT2_lT3_lli.has_indirect_call, 0
	.section	.AMDGPU.csdata,"",@progbits
; Kernel info:
; codeLenInByte = 568
; TotalNumSgprs: 16
; NumVgprs: 7
; ScratchSize: 0
; MemoryBound: 0
; FloatMode: 240
; IeeeMode: 1
; LDSByteSize: 0 bytes/workgroup (compile time only)
; SGPRBlocks: 1
; VGPRBlocks: 1
; NumSGPRsForWavesPerEU: 16
; NumVGPRsForWavesPerEU: 7
; Occupancy: 10
; WaveLimiterHint : 1
; COMPUTE_PGM_RSRC2:SCRATCH_EN: 0
; COMPUTE_PGM_RSRC2:USER_SGPR: 6
; COMPUTE_PGM_RSRC2:TRAP_HANDLER: 0
; COMPUTE_PGM_RSRC2:TGID_X_EN: 1
; COMPUTE_PGM_RSRC2:TGID_Y_EN: 0
; COMPUTE_PGM_RSRC2:TGID_Z_EN: 1
; COMPUTE_PGM_RSRC2:TIDIG_COMP_CNT: 0
	.section	.text._ZL22rocblas_sscal_2_kernelILi256E16rocblas_bfloat16fS0_PKPS0_EviT2_lT3_lli,"axG",@progbits,_ZL22rocblas_sscal_2_kernelILi256E16rocblas_bfloat16fS0_PKPS0_EviT2_lT3_lli,comdat
	.globl	_ZL22rocblas_sscal_2_kernelILi256E16rocblas_bfloat16fS0_PKPS0_EviT2_lT3_lli ; -- Begin function _ZL22rocblas_sscal_2_kernelILi256E16rocblas_bfloat16fS0_PKPS0_EviT2_lT3_lli
	.p2align	8
	.type	_ZL22rocblas_sscal_2_kernelILi256E16rocblas_bfloat16fS0_PKPS0_EviT2_lT3_lli,@function
_ZL22rocblas_sscal_2_kernelILi256E16rocblas_bfloat16fS0_PKPS0_EviT2_lT3_lli: ; @_ZL22rocblas_sscal_2_kernelILi256E16rocblas_bfloat16fS0_PKPS0_EviT2_lT3_lli
; %bb.0:
	s_load_dwordx2 s[0:1], s[4:5], 0x0
	s_waitcnt lgkmcnt(0)
	s_lshl_b32 s1, s1, 16
	v_cmp_eq_f32_e64 s[8:9], s1, 1.0
	s_and_b64 vcc, exec, s[8:9]
	s_cbranch_vccnz .LBB113_17
; %bb.1:
	s_load_dwordx4 s[8:11], s[4:5], 0x10
	s_mov_b32 s2, s7
	s_mov_b32 s3, 0
	s_lshl_b64 s[2:3], s[2:3], 3
	v_lshlrev_b32_e32 v0, 1, v0
	s_waitcnt lgkmcnt(0)
	s_add_u32 s2, s8, s2
	s_addc_u32 s3, s9, s3
	s_load_dwordx2 s[2:3], s[2:3], 0x0
	v_lshl_or_b32 v0, s6, 9, v0
	s_lshl_b64 s[4:5], s[10:11], 1
	v_or_b32_e32 v1, 1, v0
	v_cmp_gt_u32_e32 vcc, s0, v1
	s_waitcnt lgkmcnt(0)
	s_add_u32 s6, s2, s4
	s_addc_u32 s7, s3, s5
	s_and_saveexec_b64 s[2:3], vcc
	s_cbranch_execz .LBB113_11
; %bb.2:
	v_mov_b32_e32 v1, 0
	v_lshlrev_b64 v[1:2], 1, v[0:1]
	v_mov_b32_e32 v3, s7
	v_add_co_u32_e32 v1, vcc, s6, v1
	v_addc_co_u32_e32 v2, vcc, v3, v2, vcc
	flat_load_ushort v3, v[1:2]
	s_mov_b32 s4, 0x7f800000
	s_waitcnt vmcnt(0) lgkmcnt(0)
	v_lshlrev_b32_e32 v3, 16, v3
	v_mul_f32_e32 v3, s1, v3
	v_and_b32_e32 v4, 0x7f800000, v3
	v_cmp_ne_u32_e32 vcc, s4, v4
                                        ; implicit-def: $vgpr4
	s_and_saveexec_b64 s[4:5], vcc
	s_xor_b64 s[4:5], exec, s[4:5]
; %bb.3:
	v_bfe_u32 v4, v3, 16, 1
	s_movk_i32 s8, 0x7fff
	v_add3_u32 v4, v3, v4, s8
                                        ; implicit-def: $vgpr3
; %bb.4:
	s_andn2_saveexec_b64 s[4:5], s[4:5]
; %bb.5:
	v_mov_b32_e32 v4, 0
	v_or_b32_e32 v5, 0x10000, v3
	v_cmp_eq_u32_sdwa vcc, v3, v4 src0_sel:WORD_0 src1_sel:DWORD
	v_cndmask_b32_e32 v4, v5, v3, vcc
; %bb.6:
	s_or_b64 exec, exec, s[4:5]
	flat_load_ushort v3, v[1:2] offset:2
	s_mov_b32 s4, 0x7f800000
	flat_store_short_d16_hi v[1:2], v4
	s_waitcnt vmcnt(0) lgkmcnt(0)
	v_lshlrev_b32_e32 v3, 16, v3
	v_mul_f32_e32 v3, s1, v3
	v_and_b32_e32 v4, 0x7f800000, v3
	v_cmp_ne_u32_e32 vcc, s4, v4
                                        ; implicit-def: $vgpr4
	s_and_saveexec_b64 s[4:5], vcc
	s_xor_b64 s[4:5], exec, s[4:5]
; %bb.7:
	v_bfe_u32 v4, v3, 16, 1
	s_movk_i32 s8, 0x7fff
	v_add3_u32 v4, v3, v4, s8
                                        ; implicit-def: $vgpr3
; %bb.8:
	s_andn2_saveexec_b64 s[4:5], s[4:5]
; %bb.9:
	v_mov_b32_e32 v4, 0
	v_or_b32_e32 v5, 0x10000, v3
	v_cmp_eq_u32_sdwa vcc, v3, v4 src0_sel:WORD_0 src1_sel:DWORD
	v_cndmask_b32_e32 v4, v5, v3, vcc
; %bb.10:
	s_or_b64 exec, exec, s[4:5]
	flat_store_short_d16_hi v[1:2], v4 offset:2
.LBB113_11:
	s_or_b64 exec, exec, s[2:3]
	s_bitcmp1_b32 s0, 0
	s_cselect_b64 s[2:3], -1, 0
	s_add_i32 s0, s0, -1
	v_cmp_eq_u32_e32 vcc, s0, v0
	s_and_b64 s[2:3], s[2:3], vcc
	s_and_saveexec_b64 s[4:5], s[2:3]
	s_cbranch_execz .LBB113_17
; %bb.12:
	v_mov_b32_e32 v1, 0
	v_lshlrev_b64 v[0:1], 1, v[0:1]
	v_mov_b32_e32 v2, s7
	v_add_co_u32_e32 v0, vcc, s6, v0
	v_addc_co_u32_e32 v1, vcc, v2, v1, vcc
	flat_load_ushort v2, v[0:1]
	s_mov_b32 s0, 0x7f800000
	s_waitcnt vmcnt(0) lgkmcnt(0)
	v_lshlrev_b32_e32 v2, 16, v2
	v_mul_f32_e32 v2, s1, v2
	v_and_b32_e32 v3, 0x7f800000, v2
	v_cmp_ne_u32_e32 vcc, s0, v3
                                        ; implicit-def: $vgpr3
	s_and_saveexec_b64 s[0:1], vcc
	s_xor_b64 s[0:1], exec, s[0:1]
; %bb.13:
	v_bfe_u32 v3, v2, 16, 1
	s_movk_i32 s2, 0x7fff
	v_add3_u32 v3, v2, v3, s2
                                        ; implicit-def: $vgpr2
; %bb.14:
	s_andn2_saveexec_b64 s[0:1], s[0:1]
; %bb.15:
	v_mov_b32_e32 v3, 0
	v_or_b32_e32 v4, 0x10000, v2
	v_cmp_eq_u32_sdwa vcc, v2, v3 src0_sel:WORD_0 src1_sel:DWORD
	v_cndmask_b32_e32 v3, v4, v2, vcc
; %bb.16:
	s_or_b64 exec, exec, s[0:1]
	flat_store_short_d16_hi v[0:1], v3
.LBB113_17:
	s_endpgm
	.section	.rodata,"a",@progbits
	.p2align	6, 0x0
	.amdhsa_kernel _ZL22rocblas_sscal_2_kernelILi256E16rocblas_bfloat16fS0_PKPS0_EviT2_lT3_lli
		.amdhsa_group_segment_fixed_size 0
		.amdhsa_private_segment_fixed_size 0
		.amdhsa_kernarg_size 44
		.amdhsa_user_sgpr_count 6
		.amdhsa_user_sgpr_private_segment_buffer 1
		.amdhsa_user_sgpr_dispatch_ptr 0
		.amdhsa_user_sgpr_queue_ptr 0
		.amdhsa_user_sgpr_kernarg_segment_ptr 1
		.amdhsa_user_sgpr_dispatch_id 0
		.amdhsa_user_sgpr_flat_scratch_init 0
		.amdhsa_user_sgpr_private_segment_size 0
		.amdhsa_uses_dynamic_stack 0
		.amdhsa_system_sgpr_private_segment_wavefront_offset 0
		.amdhsa_system_sgpr_workgroup_id_x 1
		.amdhsa_system_sgpr_workgroup_id_y 0
		.amdhsa_system_sgpr_workgroup_id_z 1
		.amdhsa_system_sgpr_workgroup_info 0
		.amdhsa_system_vgpr_workitem_id 0
		.amdhsa_next_free_vgpr 6
		.amdhsa_next_free_sgpr 12
		.amdhsa_reserve_vcc 1
		.amdhsa_reserve_flat_scratch 0
		.amdhsa_float_round_mode_32 0
		.amdhsa_float_round_mode_16_64 0
		.amdhsa_float_denorm_mode_32 3
		.amdhsa_float_denorm_mode_16_64 3
		.amdhsa_dx10_clamp 1
		.amdhsa_ieee_mode 1
		.amdhsa_fp16_overflow 0
		.amdhsa_exception_fp_ieee_invalid_op 0
		.amdhsa_exception_fp_denorm_src 0
		.amdhsa_exception_fp_ieee_div_zero 0
		.amdhsa_exception_fp_ieee_overflow 0
		.amdhsa_exception_fp_ieee_underflow 0
		.amdhsa_exception_fp_ieee_inexact 0
		.amdhsa_exception_int_div_zero 0
	.end_amdhsa_kernel
	.section	.text._ZL22rocblas_sscal_2_kernelILi256E16rocblas_bfloat16fS0_PKPS0_EviT2_lT3_lli,"axG",@progbits,_ZL22rocblas_sscal_2_kernelILi256E16rocblas_bfloat16fS0_PKPS0_EviT2_lT3_lli,comdat
.Lfunc_end113:
	.size	_ZL22rocblas_sscal_2_kernelILi256E16rocblas_bfloat16fS0_PKPS0_EviT2_lT3_lli, .Lfunc_end113-_ZL22rocblas_sscal_2_kernelILi256E16rocblas_bfloat16fS0_PKPS0_EviT2_lT3_lli
                                        ; -- End function
	.set _ZL22rocblas_sscal_2_kernelILi256E16rocblas_bfloat16fS0_PKPS0_EviT2_lT3_lli.num_vgpr, 6
	.set _ZL22rocblas_sscal_2_kernelILi256E16rocblas_bfloat16fS0_PKPS0_EviT2_lT3_lli.num_agpr, 0
	.set _ZL22rocblas_sscal_2_kernelILi256E16rocblas_bfloat16fS0_PKPS0_EviT2_lT3_lli.numbered_sgpr, 12
	.set _ZL22rocblas_sscal_2_kernelILi256E16rocblas_bfloat16fS0_PKPS0_EviT2_lT3_lli.num_named_barrier, 0
	.set _ZL22rocblas_sscal_2_kernelILi256E16rocblas_bfloat16fS0_PKPS0_EviT2_lT3_lli.private_seg_size, 0
	.set _ZL22rocblas_sscal_2_kernelILi256E16rocblas_bfloat16fS0_PKPS0_EviT2_lT3_lli.uses_vcc, 1
	.set _ZL22rocblas_sscal_2_kernelILi256E16rocblas_bfloat16fS0_PKPS0_EviT2_lT3_lli.uses_flat_scratch, 0
	.set _ZL22rocblas_sscal_2_kernelILi256E16rocblas_bfloat16fS0_PKPS0_EviT2_lT3_lli.has_dyn_sized_stack, 0
	.set _ZL22rocblas_sscal_2_kernelILi256E16rocblas_bfloat16fS0_PKPS0_EviT2_lT3_lli.has_recursion, 0
	.set _ZL22rocblas_sscal_2_kernelILi256E16rocblas_bfloat16fS0_PKPS0_EviT2_lT3_lli.has_indirect_call, 0
	.section	.AMDGPU.csdata,"",@progbits
; Kernel info:
; codeLenInByte = 524
; TotalNumSgprs: 16
; NumVgprs: 6
; ScratchSize: 0
; MemoryBound: 0
; FloatMode: 240
; IeeeMode: 1
; LDSByteSize: 0 bytes/workgroup (compile time only)
; SGPRBlocks: 1
; VGPRBlocks: 1
; NumSGPRsForWavesPerEU: 16
; NumVGPRsForWavesPerEU: 6
; Occupancy: 10
; WaveLimiterHint : 1
; COMPUTE_PGM_RSRC2:SCRATCH_EN: 0
; COMPUTE_PGM_RSRC2:USER_SGPR: 6
; COMPUTE_PGM_RSRC2:TRAP_HANDLER: 0
; COMPUTE_PGM_RSRC2:TGID_X_EN: 1
; COMPUTE_PGM_RSRC2:TGID_Y_EN: 0
; COMPUTE_PGM_RSRC2:TGID_Z_EN: 1
; COMPUTE_PGM_RSRC2:TIDIG_COMP_CNT: 0
	.section	.text._ZL19rocblas_scal_kernelIiLi256E16rocblas_bfloat16fPKS0_PKPS0_EviT3_lT4_lT_li,"axG",@progbits,_ZL19rocblas_scal_kernelIiLi256E16rocblas_bfloat16fPKS0_PKPS0_EviT3_lT4_lT_li,comdat
	.globl	_ZL19rocblas_scal_kernelIiLi256E16rocblas_bfloat16fPKS0_PKPS0_EviT3_lT4_lT_li ; -- Begin function _ZL19rocblas_scal_kernelIiLi256E16rocblas_bfloat16fPKS0_PKPS0_EviT3_lT4_lT_li
	.p2align	8
	.type	_ZL19rocblas_scal_kernelIiLi256E16rocblas_bfloat16fPKS0_PKPS0_EviT3_lT4_lT_li,@function
_ZL19rocblas_scal_kernelIiLi256E16rocblas_bfloat16fPKS0_PKPS0_EviT3_lT4_lT_li: ; @_ZL19rocblas_scal_kernelIiLi256E16rocblas_bfloat16fPKS0_PKPS0_EviT3_lT4_lT_li
; %bb.0:
	s_load_dwordx8 s[8:15], s[4:5], 0x8
	v_mov_b32_e32 v1, 0
	v_lshl_or_b32 v0, s6, 8, v0
	s_mov_b32 s2, s7
	s_waitcnt lgkmcnt(0)
	s_mul_i32 s0, s11, s7
	s_mul_hi_u32 s1, s10, s7
	s_add_i32 s1, s1, s0
	s_mul_i32 s0, s10, s7
	s_lshl_b64 s[0:1], s[0:1], 1
	s_add_u32 s0, s8, s0
	s_addc_u32 s1, s9, s1
	global_load_ushort v1, v1, s[0:1]
	s_load_dword s0, s[4:5], 0x0
	s_waitcnt lgkmcnt(0)
	v_cmp_gt_u32_e64 s[0:1], s0, v0
	s_waitcnt vmcnt(0)
	v_lshlrev_b32_e32 v2, 16, v1
	v_cmp_neq_f32_e32 vcc, 1.0, v2
	s_and_b64 s[0:1], s[0:1], vcc
	s_and_saveexec_b64 s[6:7], s[0:1]
	s_cbranch_execz .LBB114_6
; %bb.1:
	s_load_dword s4, s[4:5], 0x28
	s_mov_b32 s3, 0
	s_lshl_b64 s[0:1], s[2:3], 3
	s_waitcnt lgkmcnt(0)
	v_mad_u64_u32 v[3:4], s[2:3], s4, v0, 0
	s_ashr_i32 s5, s4, 31
	s_add_u32 s0, s12, s0
	s_addc_u32 s1, s13, s1
	v_mov_b32_e32 v1, v4
	s_load_dwordx2 s[0:1], s[0:1], 0x0
	v_mad_u64_u32 v[0:1], s[2:3], s5, v0, v[1:2]
	s_lshl_b64 s[2:3], s[14:15], 1
	v_mov_b32_e32 v4, v0
	s_waitcnt lgkmcnt(0)
	s_add_u32 s0, s0, s2
	v_lshlrev_b64 v[0:1], 1, v[3:4]
	s_addc_u32 s1, s1, s3
	v_mov_b32_e32 v3, s1
	v_add_co_u32_e32 v0, vcc, s0, v0
	v_addc_co_u32_e32 v1, vcc, v3, v1, vcc
	flat_load_ushort v3, v[0:1]
	s_mov_b32 s0, 0x7f800000
	s_waitcnt vmcnt(0) lgkmcnt(0)
	v_lshlrev_b32_e32 v3, 16, v3
	v_mul_f32_e32 v2, v2, v3
	v_and_b32_e32 v3, 0x7f800000, v2
	v_cmp_ne_u32_e32 vcc, s0, v3
                                        ; implicit-def: $vgpr3
	s_and_saveexec_b64 s[0:1], vcc
	s_xor_b64 s[0:1], exec, s[0:1]
; %bb.2:
	v_bfe_u32 v3, v2, 16, 1
	s_movk_i32 s2, 0x7fff
	v_add3_u32 v3, v2, v3, s2
                                        ; implicit-def: $vgpr2
; %bb.3:
	s_andn2_saveexec_b64 s[0:1], s[0:1]
; %bb.4:
	v_mov_b32_e32 v3, 0
	v_or_b32_e32 v4, 0x10000, v2
	v_cmp_eq_u32_sdwa vcc, v2, v3 src0_sel:WORD_0 src1_sel:DWORD
	v_cndmask_b32_e32 v3, v4, v2, vcc
; %bb.5:
	s_or_b64 exec, exec, s[0:1]
	flat_store_short_d16_hi v[0:1], v3
.LBB114_6:
	s_endpgm
	.section	.rodata,"a",@progbits
	.p2align	6, 0x0
	.amdhsa_kernel _ZL19rocblas_scal_kernelIiLi256E16rocblas_bfloat16fPKS0_PKPS0_EviT3_lT4_lT_li
		.amdhsa_group_segment_fixed_size 0
		.amdhsa_private_segment_fixed_size 0
		.amdhsa_kernarg_size 60
		.amdhsa_user_sgpr_count 6
		.amdhsa_user_sgpr_private_segment_buffer 1
		.amdhsa_user_sgpr_dispatch_ptr 0
		.amdhsa_user_sgpr_queue_ptr 0
		.amdhsa_user_sgpr_kernarg_segment_ptr 1
		.amdhsa_user_sgpr_dispatch_id 0
		.amdhsa_user_sgpr_flat_scratch_init 0
		.amdhsa_user_sgpr_private_segment_size 0
		.amdhsa_uses_dynamic_stack 0
		.amdhsa_system_sgpr_private_segment_wavefront_offset 0
		.amdhsa_system_sgpr_workgroup_id_x 1
		.amdhsa_system_sgpr_workgroup_id_y 0
		.amdhsa_system_sgpr_workgroup_id_z 1
		.amdhsa_system_sgpr_workgroup_info 0
		.amdhsa_system_vgpr_workitem_id 0
		.amdhsa_next_free_vgpr 5
		.amdhsa_next_free_sgpr 16
		.amdhsa_reserve_vcc 1
		.amdhsa_reserve_flat_scratch 0
		.amdhsa_float_round_mode_32 0
		.amdhsa_float_round_mode_16_64 0
		.amdhsa_float_denorm_mode_32 3
		.amdhsa_float_denorm_mode_16_64 3
		.amdhsa_dx10_clamp 1
		.amdhsa_ieee_mode 1
		.amdhsa_fp16_overflow 0
		.amdhsa_exception_fp_ieee_invalid_op 0
		.amdhsa_exception_fp_denorm_src 0
		.amdhsa_exception_fp_ieee_div_zero 0
		.amdhsa_exception_fp_ieee_overflow 0
		.amdhsa_exception_fp_ieee_underflow 0
		.amdhsa_exception_fp_ieee_inexact 0
		.amdhsa_exception_int_div_zero 0
	.end_amdhsa_kernel
	.section	.text._ZL19rocblas_scal_kernelIiLi256E16rocblas_bfloat16fPKS0_PKPS0_EviT3_lT4_lT_li,"axG",@progbits,_ZL19rocblas_scal_kernelIiLi256E16rocblas_bfloat16fPKS0_PKPS0_EviT3_lT4_lT_li,comdat
.Lfunc_end114:
	.size	_ZL19rocblas_scal_kernelIiLi256E16rocblas_bfloat16fPKS0_PKPS0_EviT3_lT4_lT_li, .Lfunc_end114-_ZL19rocblas_scal_kernelIiLi256E16rocblas_bfloat16fPKS0_PKPS0_EviT3_lT4_lT_li
                                        ; -- End function
	.set _ZL19rocblas_scal_kernelIiLi256E16rocblas_bfloat16fPKS0_PKPS0_EviT3_lT4_lT_li.num_vgpr, 5
	.set _ZL19rocblas_scal_kernelIiLi256E16rocblas_bfloat16fPKS0_PKPS0_EviT3_lT4_lT_li.num_agpr, 0
	.set _ZL19rocblas_scal_kernelIiLi256E16rocblas_bfloat16fPKS0_PKPS0_EviT3_lT4_lT_li.numbered_sgpr, 16
	.set _ZL19rocblas_scal_kernelIiLi256E16rocblas_bfloat16fPKS0_PKPS0_EviT3_lT4_lT_li.num_named_barrier, 0
	.set _ZL19rocblas_scal_kernelIiLi256E16rocblas_bfloat16fPKS0_PKPS0_EviT3_lT4_lT_li.private_seg_size, 0
	.set _ZL19rocblas_scal_kernelIiLi256E16rocblas_bfloat16fPKS0_PKPS0_EviT3_lT4_lT_li.uses_vcc, 1
	.set _ZL19rocblas_scal_kernelIiLi256E16rocblas_bfloat16fPKS0_PKPS0_EviT3_lT4_lT_li.uses_flat_scratch, 0
	.set _ZL19rocblas_scal_kernelIiLi256E16rocblas_bfloat16fPKS0_PKPS0_EviT3_lT4_lT_li.has_dyn_sized_stack, 0
	.set _ZL19rocblas_scal_kernelIiLi256E16rocblas_bfloat16fPKS0_PKPS0_EviT3_lT4_lT_li.has_recursion, 0
	.set _ZL19rocblas_scal_kernelIiLi256E16rocblas_bfloat16fPKS0_PKPS0_EviT3_lT4_lT_li.has_indirect_call, 0
	.section	.AMDGPU.csdata,"",@progbits
; Kernel info:
; codeLenInByte = 320
; TotalNumSgprs: 20
; NumVgprs: 5
; ScratchSize: 0
; MemoryBound: 0
; FloatMode: 240
; IeeeMode: 1
; LDSByteSize: 0 bytes/workgroup (compile time only)
; SGPRBlocks: 2
; VGPRBlocks: 1
; NumSGPRsForWavesPerEU: 20
; NumVGPRsForWavesPerEU: 5
; Occupancy: 10
; WaveLimiterHint : 1
; COMPUTE_PGM_RSRC2:SCRATCH_EN: 0
; COMPUTE_PGM_RSRC2:USER_SGPR: 6
; COMPUTE_PGM_RSRC2:TRAP_HANDLER: 0
; COMPUTE_PGM_RSRC2:TGID_X_EN: 1
; COMPUTE_PGM_RSRC2:TGID_Y_EN: 0
; COMPUTE_PGM_RSRC2:TGID_Z_EN: 1
; COMPUTE_PGM_RSRC2:TIDIG_COMP_CNT: 0
	.section	.text._ZL19rocblas_scal_kernelIiLi256E16rocblas_bfloat16fS0_PKPS0_EviT3_lT4_lT_li,"axG",@progbits,_ZL19rocblas_scal_kernelIiLi256E16rocblas_bfloat16fS0_PKPS0_EviT3_lT4_lT_li,comdat
	.globl	_ZL19rocblas_scal_kernelIiLi256E16rocblas_bfloat16fS0_PKPS0_EviT3_lT4_lT_li ; -- Begin function _ZL19rocblas_scal_kernelIiLi256E16rocblas_bfloat16fS0_PKPS0_EviT3_lT4_lT_li
	.p2align	8
	.type	_ZL19rocblas_scal_kernelIiLi256E16rocblas_bfloat16fS0_PKPS0_EviT3_lT4_lT_li,@function
_ZL19rocblas_scal_kernelIiLi256E16rocblas_bfloat16fS0_PKPS0_EviT3_lT4_lT_li: ; @_ZL19rocblas_scal_kernelIiLi256E16rocblas_bfloat16fS0_PKPS0_EviT3_lT4_lT_li
; %bb.0:
	s_load_dwordx2 s[8:9], s[4:5], 0x0
	v_lshl_or_b32 v0, s6, 8, v0
	s_mov_b32 s0, s7
	s_waitcnt lgkmcnt(0)
	s_lshl_b32 s2, s9, 16
	v_cmp_neq_f32_e64 s[6:7], s2, 1.0
	v_cmp_gt_u32_e32 vcc, s8, v0
	s_and_b64 s[6:7], vcc, s[6:7]
	s_and_saveexec_b64 s[8:9], s[6:7]
	s_cbranch_execz .LBB115_6
; %bb.1:
	s_load_dword s3, s[4:5], 0x20
	s_load_dwordx4 s[8:11], s[4:5], 0x10
	s_mov_b32 s1, 0
	s_lshl_b64 s[0:1], s[0:1], 3
	s_waitcnt lgkmcnt(0)
	s_ashr_i32 s6, s3, 31
	v_mad_u64_u32 v[1:2], s[4:5], s3, v0, 0
	s_add_u32 s0, s8, s0
	s_addc_u32 s1, s9, s1
	s_load_dwordx2 s[0:1], s[0:1], 0x0
	v_mad_u64_u32 v[2:3], s[4:5], s6, v0, v[2:3]
	s_lshl_b64 s[4:5], s[10:11], 1
	s_waitcnt lgkmcnt(0)
	s_add_u32 s0, s0, s4
	v_lshlrev_b64 v[0:1], 1, v[1:2]
	s_addc_u32 s1, s1, s5
	v_mov_b32_e32 v2, s1
	v_add_co_u32_e32 v0, vcc, s0, v0
	v_addc_co_u32_e32 v1, vcc, v2, v1, vcc
	flat_load_ushort v2, v[0:1]
	s_mov_b32 s0, 0x7f800000
	s_waitcnt vmcnt(0) lgkmcnt(0)
	v_lshlrev_b32_e32 v2, 16, v2
	v_mul_f32_e32 v2, s2, v2
	v_and_b32_e32 v3, 0x7f800000, v2
	v_cmp_ne_u32_e32 vcc, s0, v3
                                        ; implicit-def: $vgpr3
	s_and_saveexec_b64 s[0:1], vcc
	s_xor_b64 s[0:1], exec, s[0:1]
; %bb.2:
	v_bfe_u32 v3, v2, 16, 1
	s_movk_i32 s2, 0x7fff
	v_add3_u32 v3, v2, v3, s2
                                        ; implicit-def: $vgpr2
; %bb.3:
	s_andn2_saveexec_b64 s[0:1], s[0:1]
; %bb.4:
	v_mov_b32_e32 v3, 0
	v_or_b32_e32 v4, 0x10000, v2
	v_cmp_eq_u32_sdwa vcc, v2, v3 src0_sel:WORD_0 src1_sel:DWORD
	v_cndmask_b32_e32 v3, v4, v2, vcc
; %bb.5:
	s_or_b64 exec, exec, s[0:1]
	flat_store_short_d16_hi v[0:1], v3
.LBB115_6:
	s_endpgm
	.section	.rodata,"a",@progbits
	.p2align	6, 0x0
	.amdhsa_kernel _ZL19rocblas_scal_kernelIiLi256E16rocblas_bfloat16fS0_PKPS0_EviT3_lT4_lT_li
		.amdhsa_group_segment_fixed_size 0
		.amdhsa_private_segment_fixed_size 0
		.amdhsa_kernarg_size 52
		.amdhsa_user_sgpr_count 6
		.amdhsa_user_sgpr_private_segment_buffer 1
		.amdhsa_user_sgpr_dispatch_ptr 0
		.amdhsa_user_sgpr_queue_ptr 0
		.amdhsa_user_sgpr_kernarg_segment_ptr 1
		.amdhsa_user_sgpr_dispatch_id 0
		.amdhsa_user_sgpr_flat_scratch_init 0
		.amdhsa_user_sgpr_private_segment_size 0
		.amdhsa_uses_dynamic_stack 0
		.amdhsa_system_sgpr_private_segment_wavefront_offset 0
		.amdhsa_system_sgpr_workgroup_id_x 1
		.amdhsa_system_sgpr_workgroup_id_y 0
		.amdhsa_system_sgpr_workgroup_id_z 1
		.amdhsa_system_sgpr_workgroup_info 0
		.amdhsa_system_vgpr_workitem_id 0
		.amdhsa_next_free_vgpr 5
		.amdhsa_next_free_sgpr 12
		.amdhsa_reserve_vcc 1
		.amdhsa_reserve_flat_scratch 0
		.amdhsa_float_round_mode_32 0
		.amdhsa_float_round_mode_16_64 0
		.amdhsa_float_denorm_mode_32 3
		.amdhsa_float_denorm_mode_16_64 3
		.amdhsa_dx10_clamp 1
		.amdhsa_ieee_mode 1
		.amdhsa_fp16_overflow 0
		.amdhsa_exception_fp_ieee_invalid_op 0
		.amdhsa_exception_fp_denorm_src 0
		.amdhsa_exception_fp_ieee_div_zero 0
		.amdhsa_exception_fp_ieee_overflow 0
		.amdhsa_exception_fp_ieee_underflow 0
		.amdhsa_exception_fp_ieee_inexact 0
		.amdhsa_exception_int_div_zero 0
	.end_amdhsa_kernel
	.section	.text._ZL19rocblas_scal_kernelIiLi256E16rocblas_bfloat16fS0_PKPS0_EviT3_lT4_lT_li,"axG",@progbits,_ZL19rocblas_scal_kernelIiLi256E16rocblas_bfloat16fS0_PKPS0_EviT3_lT4_lT_li,comdat
.Lfunc_end115:
	.size	_ZL19rocblas_scal_kernelIiLi256E16rocblas_bfloat16fS0_PKPS0_EviT3_lT4_lT_li, .Lfunc_end115-_ZL19rocblas_scal_kernelIiLi256E16rocblas_bfloat16fS0_PKPS0_EviT3_lT4_lT_li
                                        ; -- End function
	.set _ZL19rocblas_scal_kernelIiLi256E16rocblas_bfloat16fS0_PKPS0_EviT3_lT4_lT_li.num_vgpr, 5
	.set _ZL19rocblas_scal_kernelIiLi256E16rocblas_bfloat16fS0_PKPS0_EviT3_lT4_lT_li.num_agpr, 0
	.set _ZL19rocblas_scal_kernelIiLi256E16rocblas_bfloat16fS0_PKPS0_EviT3_lT4_lT_li.numbered_sgpr, 12
	.set _ZL19rocblas_scal_kernelIiLi256E16rocblas_bfloat16fS0_PKPS0_EviT3_lT4_lT_li.num_named_barrier, 0
	.set _ZL19rocblas_scal_kernelIiLi256E16rocblas_bfloat16fS0_PKPS0_EviT3_lT4_lT_li.private_seg_size, 0
	.set _ZL19rocblas_scal_kernelIiLi256E16rocblas_bfloat16fS0_PKPS0_EviT3_lT4_lT_li.uses_vcc, 1
	.set _ZL19rocblas_scal_kernelIiLi256E16rocblas_bfloat16fS0_PKPS0_EviT3_lT4_lT_li.uses_flat_scratch, 0
	.set _ZL19rocblas_scal_kernelIiLi256E16rocblas_bfloat16fS0_PKPS0_EviT3_lT4_lT_li.has_dyn_sized_stack, 0
	.set _ZL19rocblas_scal_kernelIiLi256E16rocblas_bfloat16fS0_PKPS0_EviT3_lT4_lT_li.has_recursion, 0
	.set _ZL19rocblas_scal_kernelIiLi256E16rocblas_bfloat16fS0_PKPS0_EviT3_lT4_lT_li.has_indirect_call, 0
	.section	.AMDGPU.csdata,"",@progbits
; Kernel info:
; codeLenInByte = 264
; TotalNumSgprs: 16
; NumVgprs: 5
; ScratchSize: 0
; MemoryBound: 0
; FloatMode: 240
; IeeeMode: 1
; LDSByteSize: 0 bytes/workgroup (compile time only)
; SGPRBlocks: 1
; VGPRBlocks: 1
; NumSGPRsForWavesPerEU: 16
; NumVGPRsForWavesPerEU: 5
; Occupancy: 10
; WaveLimiterHint : 1
; COMPUTE_PGM_RSRC2:SCRATCH_EN: 0
; COMPUTE_PGM_RSRC2:USER_SGPR: 6
; COMPUTE_PGM_RSRC2:TRAP_HANDLER: 0
; COMPUTE_PGM_RSRC2:TGID_X_EN: 1
; COMPUTE_PGM_RSRC2:TGID_Y_EN: 0
; COMPUTE_PGM_RSRC2:TGID_Z_EN: 1
; COMPUTE_PGM_RSRC2:TIDIG_COMP_CNT: 0
	.section	.text._ZL19rocblas_scal_kernelIlLi256E16rocblas_bfloat16fPKS0_PKPS0_EviT3_lT4_lT_li,"axG",@progbits,_ZL19rocblas_scal_kernelIlLi256E16rocblas_bfloat16fPKS0_PKPS0_EviT3_lT4_lT_li,comdat
	.globl	_ZL19rocblas_scal_kernelIlLi256E16rocblas_bfloat16fPKS0_PKPS0_EviT3_lT4_lT_li ; -- Begin function _ZL19rocblas_scal_kernelIlLi256E16rocblas_bfloat16fPKS0_PKPS0_EviT3_lT4_lT_li
	.p2align	8
	.type	_ZL19rocblas_scal_kernelIlLi256E16rocblas_bfloat16fPKS0_PKPS0_EviT3_lT4_lT_li,@function
_ZL19rocblas_scal_kernelIlLi256E16rocblas_bfloat16fPKS0_PKPS0_EviT3_lT4_lT_li: ; @_ZL19rocblas_scal_kernelIlLi256E16rocblas_bfloat16fPKS0_PKPS0_EviT3_lT4_lT_li
; %bb.0:
	s_load_dwordx8 s[8:15], s[4:5], 0x8
	v_mov_b32_e32 v1, 0
	v_lshl_or_b32 v0, s6, 8, v0
	s_mov_b32 s2, s7
	s_waitcnt lgkmcnt(0)
	s_mul_i32 s0, s11, s7
	s_mul_hi_u32 s1, s10, s7
	s_add_i32 s1, s1, s0
	s_mul_i32 s0, s10, s7
	s_lshl_b64 s[0:1], s[0:1], 1
	s_add_u32 s0, s8, s0
	s_addc_u32 s1, s9, s1
	global_load_ushort v1, v1, s[0:1]
	s_load_dword s0, s[4:5], 0x0
	s_waitcnt lgkmcnt(0)
	v_cmp_gt_u32_e64 s[0:1], s0, v0
	s_waitcnt vmcnt(0)
	v_lshlrev_b32_e32 v2, 16, v1
	v_cmp_neq_f32_e32 vcc, 1.0, v2
	s_and_b64 s[0:1], s[0:1], vcc
	s_and_saveexec_b64 s[6:7], s[0:1]
	s_cbranch_execz .LBB116_6
; %bb.1:
	s_load_dwordx2 s[0:1], s[4:5], 0x28
	s_mov_b32 s3, 0
	s_lshl_b64 s[2:3], s[2:3], 3
	s_add_u32 s2, s12, s2
	s_addc_u32 s3, s13, s3
	s_waitcnt lgkmcnt(0)
	v_mad_u64_u32 v[3:4], s[4:5], s0, v0, 0
	s_load_dwordx2 s[2:3], s[2:3], 0x0
	v_mov_b32_e32 v1, v4
	v_mad_u64_u32 v[0:1], s[0:1], s1, v0, v[1:2]
	s_lshl_b64 s[0:1], s[14:15], 1
	s_waitcnt lgkmcnt(0)
	s_add_u32 s0, s2, s0
	v_mov_b32_e32 v4, v0
	v_lshlrev_b64 v[0:1], 1, v[3:4]
	s_addc_u32 s1, s3, s1
	v_mov_b32_e32 v3, s1
	v_add_co_u32_e32 v0, vcc, s0, v0
	v_addc_co_u32_e32 v1, vcc, v3, v1, vcc
	flat_load_ushort v3, v[0:1]
	s_mov_b32 s0, 0x7f800000
	s_waitcnt vmcnt(0) lgkmcnt(0)
	v_lshlrev_b32_e32 v3, 16, v3
	v_mul_f32_e32 v2, v2, v3
	v_and_b32_e32 v3, 0x7f800000, v2
	v_cmp_ne_u32_e32 vcc, s0, v3
                                        ; implicit-def: $vgpr3
	s_and_saveexec_b64 s[0:1], vcc
	s_xor_b64 s[0:1], exec, s[0:1]
; %bb.2:
	v_bfe_u32 v3, v2, 16, 1
	s_movk_i32 s2, 0x7fff
	v_add3_u32 v3, v2, v3, s2
                                        ; implicit-def: $vgpr2
; %bb.3:
	s_andn2_saveexec_b64 s[0:1], s[0:1]
; %bb.4:
	v_mov_b32_e32 v3, 0
	v_or_b32_e32 v4, 0x10000, v2
	v_cmp_eq_u32_sdwa vcc, v2, v3 src0_sel:WORD_0 src1_sel:DWORD
	v_cndmask_b32_e32 v3, v4, v2, vcc
; %bb.5:
	s_or_b64 exec, exec, s[0:1]
	flat_store_short_d16_hi v[0:1], v3
.LBB116_6:
	s_endpgm
	.section	.rodata,"a",@progbits
	.p2align	6, 0x0
	.amdhsa_kernel _ZL19rocblas_scal_kernelIlLi256E16rocblas_bfloat16fPKS0_PKPS0_EviT3_lT4_lT_li
		.amdhsa_group_segment_fixed_size 0
		.amdhsa_private_segment_fixed_size 0
		.amdhsa_kernarg_size 60
		.amdhsa_user_sgpr_count 6
		.amdhsa_user_sgpr_private_segment_buffer 1
		.amdhsa_user_sgpr_dispatch_ptr 0
		.amdhsa_user_sgpr_queue_ptr 0
		.amdhsa_user_sgpr_kernarg_segment_ptr 1
		.amdhsa_user_sgpr_dispatch_id 0
		.amdhsa_user_sgpr_flat_scratch_init 0
		.amdhsa_user_sgpr_private_segment_size 0
		.amdhsa_uses_dynamic_stack 0
		.amdhsa_system_sgpr_private_segment_wavefront_offset 0
		.amdhsa_system_sgpr_workgroup_id_x 1
		.amdhsa_system_sgpr_workgroup_id_y 0
		.amdhsa_system_sgpr_workgroup_id_z 1
		.amdhsa_system_sgpr_workgroup_info 0
		.amdhsa_system_vgpr_workitem_id 0
		.amdhsa_next_free_vgpr 5
		.amdhsa_next_free_sgpr 16
		.amdhsa_reserve_vcc 1
		.amdhsa_reserve_flat_scratch 0
		.amdhsa_float_round_mode_32 0
		.amdhsa_float_round_mode_16_64 0
		.amdhsa_float_denorm_mode_32 3
		.amdhsa_float_denorm_mode_16_64 3
		.amdhsa_dx10_clamp 1
		.amdhsa_ieee_mode 1
		.amdhsa_fp16_overflow 0
		.amdhsa_exception_fp_ieee_invalid_op 0
		.amdhsa_exception_fp_denorm_src 0
		.amdhsa_exception_fp_ieee_div_zero 0
		.amdhsa_exception_fp_ieee_overflow 0
		.amdhsa_exception_fp_ieee_underflow 0
		.amdhsa_exception_fp_ieee_inexact 0
		.amdhsa_exception_int_div_zero 0
	.end_amdhsa_kernel
	.section	.text._ZL19rocblas_scal_kernelIlLi256E16rocblas_bfloat16fPKS0_PKPS0_EviT3_lT4_lT_li,"axG",@progbits,_ZL19rocblas_scal_kernelIlLi256E16rocblas_bfloat16fPKS0_PKPS0_EviT3_lT4_lT_li,comdat
.Lfunc_end116:
	.size	_ZL19rocblas_scal_kernelIlLi256E16rocblas_bfloat16fPKS0_PKPS0_EviT3_lT4_lT_li, .Lfunc_end116-_ZL19rocblas_scal_kernelIlLi256E16rocblas_bfloat16fPKS0_PKPS0_EviT3_lT4_lT_li
                                        ; -- End function
	.set _ZL19rocblas_scal_kernelIlLi256E16rocblas_bfloat16fPKS0_PKPS0_EviT3_lT4_lT_li.num_vgpr, 5
	.set _ZL19rocblas_scal_kernelIlLi256E16rocblas_bfloat16fPKS0_PKPS0_EviT3_lT4_lT_li.num_agpr, 0
	.set _ZL19rocblas_scal_kernelIlLi256E16rocblas_bfloat16fPKS0_PKPS0_EviT3_lT4_lT_li.numbered_sgpr, 16
	.set _ZL19rocblas_scal_kernelIlLi256E16rocblas_bfloat16fPKS0_PKPS0_EviT3_lT4_lT_li.num_named_barrier, 0
	.set _ZL19rocblas_scal_kernelIlLi256E16rocblas_bfloat16fPKS0_PKPS0_EviT3_lT4_lT_li.private_seg_size, 0
	.set _ZL19rocblas_scal_kernelIlLi256E16rocblas_bfloat16fPKS0_PKPS0_EviT3_lT4_lT_li.uses_vcc, 1
	.set _ZL19rocblas_scal_kernelIlLi256E16rocblas_bfloat16fPKS0_PKPS0_EviT3_lT4_lT_li.uses_flat_scratch, 0
	.set _ZL19rocblas_scal_kernelIlLi256E16rocblas_bfloat16fPKS0_PKPS0_EviT3_lT4_lT_li.has_dyn_sized_stack, 0
	.set _ZL19rocblas_scal_kernelIlLi256E16rocblas_bfloat16fPKS0_PKPS0_EviT3_lT4_lT_li.has_recursion, 0
	.set _ZL19rocblas_scal_kernelIlLi256E16rocblas_bfloat16fPKS0_PKPS0_EviT3_lT4_lT_li.has_indirect_call, 0
	.section	.AMDGPU.csdata,"",@progbits
; Kernel info:
; codeLenInByte = 316
; TotalNumSgprs: 20
; NumVgprs: 5
; ScratchSize: 0
; MemoryBound: 0
; FloatMode: 240
; IeeeMode: 1
; LDSByteSize: 0 bytes/workgroup (compile time only)
; SGPRBlocks: 2
; VGPRBlocks: 1
; NumSGPRsForWavesPerEU: 20
; NumVGPRsForWavesPerEU: 5
; Occupancy: 10
; WaveLimiterHint : 1
; COMPUTE_PGM_RSRC2:SCRATCH_EN: 0
; COMPUTE_PGM_RSRC2:USER_SGPR: 6
; COMPUTE_PGM_RSRC2:TRAP_HANDLER: 0
; COMPUTE_PGM_RSRC2:TGID_X_EN: 1
; COMPUTE_PGM_RSRC2:TGID_Y_EN: 0
; COMPUTE_PGM_RSRC2:TGID_Z_EN: 1
; COMPUTE_PGM_RSRC2:TIDIG_COMP_CNT: 0
	.section	.text._ZL19rocblas_scal_kernelIlLi256E16rocblas_bfloat16fS0_PKPS0_EviT3_lT4_lT_li,"axG",@progbits,_ZL19rocblas_scal_kernelIlLi256E16rocblas_bfloat16fS0_PKPS0_EviT3_lT4_lT_li,comdat
	.globl	_ZL19rocblas_scal_kernelIlLi256E16rocblas_bfloat16fS0_PKPS0_EviT3_lT4_lT_li ; -- Begin function _ZL19rocblas_scal_kernelIlLi256E16rocblas_bfloat16fS0_PKPS0_EviT3_lT4_lT_li
	.p2align	8
	.type	_ZL19rocblas_scal_kernelIlLi256E16rocblas_bfloat16fS0_PKPS0_EviT3_lT4_lT_li,@function
_ZL19rocblas_scal_kernelIlLi256E16rocblas_bfloat16fS0_PKPS0_EviT3_lT4_lT_li: ; @_ZL19rocblas_scal_kernelIlLi256E16rocblas_bfloat16fS0_PKPS0_EviT3_lT4_lT_li
; %bb.0:
	s_load_dwordx2 s[8:9], s[4:5], 0x0
	v_lshl_or_b32 v0, s6, 8, v0
	s_mov_b32 s0, s7
	s_waitcnt lgkmcnt(0)
	s_lshl_b32 s2, s9, 16
	v_cmp_neq_f32_e64 s[6:7], s2, 1.0
	v_cmp_gt_u32_e32 vcc, s8, v0
	s_and_b64 s[6:7], vcc, s[6:7]
	s_and_saveexec_b64 s[8:9], s[6:7]
	s_cbranch_execz .LBB117_6
; %bb.1:
	s_load_dwordx2 s[6:7], s[4:5], 0x20
	s_load_dwordx4 s[8:11], s[4:5], 0x10
	s_mov_b32 s1, 0
	s_lshl_b64 s[0:1], s[0:1], 3
	s_waitcnt lgkmcnt(0)
	v_mad_u64_u32 v[1:2], s[4:5], s6, v0, 0
	s_add_u32 s0, s8, s0
	s_addc_u32 s1, s9, s1
	s_load_dwordx2 s[0:1], s[0:1], 0x0
	v_mad_u64_u32 v[2:3], s[4:5], s7, v0, v[2:3]
	s_lshl_b64 s[4:5], s[10:11], 1
	s_waitcnt lgkmcnt(0)
	s_add_u32 s0, s0, s4
	v_lshlrev_b64 v[0:1], 1, v[1:2]
	s_addc_u32 s1, s1, s5
	v_mov_b32_e32 v2, s1
	v_add_co_u32_e32 v0, vcc, s0, v0
	v_addc_co_u32_e32 v1, vcc, v2, v1, vcc
	flat_load_ushort v2, v[0:1]
	s_mov_b32 s0, 0x7f800000
	s_waitcnt vmcnt(0) lgkmcnt(0)
	v_lshlrev_b32_e32 v2, 16, v2
	v_mul_f32_e32 v2, s2, v2
	v_and_b32_e32 v3, 0x7f800000, v2
	v_cmp_ne_u32_e32 vcc, s0, v3
                                        ; implicit-def: $vgpr3
	s_and_saveexec_b64 s[0:1], vcc
	s_xor_b64 s[0:1], exec, s[0:1]
; %bb.2:
	v_bfe_u32 v3, v2, 16, 1
	s_movk_i32 s2, 0x7fff
	v_add3_u32 v3, v2, v3, s2
                                        ; implicit-def: $vgpr2
; %bb.3:
	s_andn2_saveexec_b64 s[0:1], s[0:1]
; %bb.4:
	v_mov_b32_e32 v3, 0
	v_or_b32_e32 v4, 0x10000, v2
	v_cmp_eq_u32_sdwa vcc, v2, v3 src0_sel:WORD_0 src1_sel:DWORD
	v_cndmask_b32_e32 v3, v4, v2, vcc
; %bb.5:
	s_or_b64 exec, exec, s[0:1]
	flat_store_short_d16_hi v[0:1], v3
.LBB117_6:
	s_endpgm
	.section	.rodata,"a",@progbits
	.p2align	6, 0x0
	.amdhsa_kernel _ZL19rocblas_scal_kernelIlLi256E16rocblas_bfloat16fS0_PKPS0_EviT3_lT4_lT_li
		.amdhsa_group_segment_fixed_size 0
		.amdhsa_private_segment_fixed_size 0
		.amdhsa_kernarg_size 52
		.amdhsa_user_sgpr_count 6
		.amdhsa_user_sgpr_private_segment_buffer 1
		.amdhsa_user_sgpr_dispatch_ptr 0
		.amdhsa_user_sgpr_queue_ptr 0
		.amdhsa_user_sgpr_kernarg_segment_ptr 1
		.amdhsa_user_sgpr_dispatch_id 0
		.amdhsa_user_sgpr_flat_scratch_init 0
		.amdhsa_user_sgpr_private_segment_size 0
		.amdhsa_uses_dynamic_stack 0
		.amdhsa_system_sgpr_private_segment_wavefront_offset 0
		.amdhsa_system_sgpr_workgroup_id_x 1
		.amdhsa_system_sgpr_workgroup_id_y 0
		.amdhsa_system_sgpr_workgroup_id_z 1
		.amdhsa_system_sgpr_workgroup_info 0
		.amdhsa_system_vgpr_workitem_id 0
		.amdhsa_next_free_vgpr 5
		.amdhsa_next_free_sgpr 12
		.amdhsa_reserve_vcc 1
		.amdhsa_reserve_flat_scratch 0
		.amdhsa_float_round_mode_32 0
		.amdhsa_float_round_mode_16_64 0
		.amdhsa_float_denorm_mode_32 3
		.amdhsa_float_denorm_mode_16_64 3
		.amdhsa_dx10_clamp 1
		.amdhsa_ieee_mode 1
		.amdhsa_fp16_overflow 0
		.amdhsa_exception_fp_ieee_invalid_op 0
		.amdhsa_exception_fp_denorm_src 0
		.amdhsa_exception_fp_ieee_div_zero 0
		.amdhsa_exception_fp_ieee_overflow 0
		.amdhsa_exception_fp_ieee_underflow 0
		.amdhsa_exception_fp_ieee_inexact 0
		.amdhsa_exception_int_div_zero 0
	.end_amdhsa_kernel
	.section	.text._ZL19rocblas_scal_kernelIlLi256E16rocblas_bfloat16fS0_PKPS0_EviT3_lT4_lT_li,"axG",@progbits,_ZL19rocblas_scal_kernelIlLi256E16rocblas_bfloat16fS0_PKPS0_EviT3_lT4_lT_li,comdat
.Lfunc_end117:
	.size	_ZL19rocblas_scal_kernelIlLi256E16rocblas_bfloat16fS0_PKPS0_EviT3_lT4_lT_li, .Lfunc_end117-_ZL19rocblas_scal_kernelIlLi256E16rocblas_bfloat16fS0_PKPS0_EviT3_lT4_lT_li
                                        ; -- End function
	.set _ZL19rocblas_scal_kernelIlLi256E16rocblas_bfloat16fS0_PKPS0_EviT3_lT4_lT_li.num_vgpr, 5
	.set _ZL19rocblas_scal_kernelIlLi256E16rocblas_bfloat16fS0_PKPS0_EviT3_lT4_lT_li.num_agpr, 0
	.set _ZL19rocblas_scal_kernelIlLi256E16rocblas_bfloat16fS0_PKPS0_EviT3_lT4_lT_li.numbered_sgpr, 12
	.set _ZL19rocblas_scal_kernelIlLi256E16rocblas_bfloat16fS0_PKPS0_EviT3_lT4_lT_li.num_named_barrier, 0
	.set _ZL19rocblas_scal_kernelIlLi256E16rocblas_bfloat16fS0_PKPS0_EviT3_lT4_lT_li.private_seg_size, 0
	.set _ZL19rocblas_scal_kernelIlLi256E16rocblas_bfloat16fS0_PKPS0_EviT3_lT4_lT_li.uses_vcc, 1
	.set _ZL19rocblas_scal_kernelIlLi256E16rocblas_bfloat16fS0_PKPS0_EviT3_lT4_lT_li.uses_flat_scratch, 0
	.set _ZL19rocblas_scal_kernelIlLi256E16rocblas_bfloat16fS0_PKPS0_EviT3_lT4_lT_li.has_dyn_sized_stack, 0
	.set _ZL19rocblas_scal_kernelIlLi256E16rocblas_bfloat16fS0_PKPS0_EviT3_lT4_lT_li.has_recursion, 0
	.set _ZL19rocblas_scal_kernelIlLi256E16rocblas_bfloat16fS0_PKPS0_EviT3_lT4_lT_li.has_indirect_call, 0
	.section	.AMDGPU.csdata,"",@progbits
; Kernel info:
; codeLenInByte = 260
; TotalNumSgprs: 16
; NumVgprs: 5
; ScratchSize: 0
; MemoryBound: 0
; FloatMode: 240
; IeeeMode: 1
; LDSByteSize: 0 bytes/workgroup (compile time only)
; SGPRBlocks: 1
; VGPRBlocks: 1
; NumSGPRsForWavesPerEU: 16
; NumVGPRsForWavesPerEU: 5
; Occupancy: 10
; WaveLimiterHint : 1
; COMPUTE_PGM_RSRC2:SCRATCH_EN: 0
; COMPUTE_PGM_RSRC2:USER_SGPR: 6
; COMPUTE_PGM_RSRC2:TRAP_HANDLER: 0
; COMPUTE_PGM_RSRC2:TGID_X_EN: 1
; COMPUTE_PGM_RSRC2:TGID_Y_EN: 0
; COMPUTE_PGM_RSRC2:TGID_Z_EN: 1
; COMPUTE_PGM_RSRC2:TIDIG_COMP_CNT: 0
	.section	.text._ZL22rocblas_sscal_2_kernelILi256E16rocblas_bfloat16fPKfPKPS0_EviT2_lT3_lli,"axG",@progbits,_ZL22rocblas_sscal_2_kernelILi256E16rocblas_bfloat16fPKfPKPS0_EviT2_lT3_lli,comdat
	.globl	_ZL22rocblas_sscal_2_kernelILi256E16rocblas_bfloat16fPKfPKPS0_EviT2_lT3_lli ; -- Begin function _ZL22rocblas_sscal_2_kernelILi256E16rocblas_bfloat16fPKfPKPS0_EviT2_lT3_lli
	.p2align	8
	.type	_ZL22rocblas_sscal_2_kernelILi256E16rocblas_bfloat16fPKfPKPS0_EviT2_lT3_lli,@function
_ZL22rocblas_sscal_2_kernelILi256E16rocblas_bfloat16fPKfPKPS0_EviT2_lT3_lli: ; @_ZL22rocblas_sscal_2_kernelILi256E16rocblas_bfloat16fPKfPKPS0_EviT2_lT3_lli
; %bb.0:
	s_load_dwordx4 s[8:11], s[4:5], 0x8
	s_mov_b32 s0, s7
	s_waitcnt lgkmcnt(0)
	s_mul_i32 s1, s11, s7
	s_mul_hi_u32 s2, s10, s7
	s_add_i32 s3, s2, s1
	s_mul_i32 s2, s10, s7
	s_lshl_b64 s[2:3], s[2:3], 2
	s_add_u32 s2, s8, s2
	s_addc_u32 s3, s9, s3
	s_load_dword s7, s[2:3], 0x0
	s_waitcnt lgkmcnt(0)
	v_cmp_eq_f32_e64 s[2:3], s7, 1.0
	s_and_b64 vcc, exec, s[2:3]
	s_cbranch_vccnz .LBB118_17
; %bb.1:
	s_load_dwordx4 s[8:11], s[4:5], 0x18
	s_mov_b32 s1, 0
	s_lshl_b64 s[0:1], s[0:1], 3
	s_load_dword s4, s[4:5], 0x0
	v_lshlrev_b32_e32 v0, 1, v0
	s_waitcnt lgkmcnt(0)
	s_add_u32 s0, s8, s0
	s_addc_u32 s1, s9, s1
	s_load_dwordx2 s[0:1], s[0:1], 0x0
	v_lshl_or_b32 v0, s6, 9, v0
	s_lshl_b64 s[2:3], s[10:11], 1
	v_or_b32_e32 v1, 1, v0
	v_cmp_gt_u32_e32 vcc, s4, v1
	s_waitcnt lgkmcnt(0)
	s_add_u32 s5, s0, s2
	s_addc_u32 s6, s1, s3
	s_and_saveexec_b64 s[0:1], vcc
	s_cbranch_execz .LBB118_11
; %bb.2:
	v_mov_b32_e32 v1, 0
	v_lshlrev_b64 v[1:2], 1, v[0:1]
	v_mov_b32_e32 v3, s6
	v_add_co_u32_e32 v1, vcc, s5, v1
	v_addc_co_u32_e32 v2, vcc, v3, v2, vcc
	flat_load_ushort v3, v[1:2]
	s_mov_b32 s2, 0x7f800000
	s_waitcnt vmcnt(0) lgkmcnt(0)
	v_lshlrev_b32_e32 v3, 16, v3
	v_mul_f32_e32 v3, s7, v3
	v_and_b32_e32 v4, 0x7f800000, v3
	v_cmp_ne_u32_e32 vcc, s2, v4
                                        ; implicit-def: $vgpr4
	s_and_saveexec_b64 s[2:3], vcc
	s_xor_b64 s[2:3], exec, s[2:3]
; %bb.3:
	v_bfe_u32 v4, v3, 16, 1
	s_movk_i32 s8, 0x7fff
	v_add3_u32 v4, v3, v4, s8
                                        ; implicit-def: $vgpr3
; %bb.4:
	s_andn2_saveexec_b64 s[2:3], s[2:3]
; %bb.5:
	v_mov_b32_e32 v4, 0
	v_or_b32_e32 v5, 0x10000, v3
	v_cmp_eq_u32_sdwa vcc, v3, v4 src0_sel:WORD_0 src1_sel:DWORD
	v_cndmask_b32_e32 v4, v5, v3, vcc
; %bb.6:
	s_or_b64 exec, exec, s[2:3]
	flat_load_ushort v3, v[1:2] offset:2
	s_mov_b32 s2, 0x7f800000
	flat_store_short_d16_hi v[1:2], v4
	s_waitcnt vmcnt(0) lgkmcnt(0)
	v_lshlrev_b32_e32 v3, 16, v3
	v_mul_f32_e32 v3, s7, v3
	v_and_b32_e32 v4, 0x7f800000, v3
	v_cmp_ne_u32_e32 vcc, s2, v4
                                        ; implicit-def: $vgpr4
	s_and_saveexec_b64 s[2:3], vcc
	s_xor_b64 s[2:3], exec, s[2:3]
; %bb.7:
	v_bfe_u32 v4, v3, 16, 1
	s_movk_i32 s8, 0x7fff
	v_add3_u32 v4, v3, v4, s8
                                        ; implicit-def: $vgpr3
; %bb.8:
	s_andn2_saveexec_b64 s[2:3], s[2:3]
; %bb.9:
	v_mov_b32_e32 v4, 0
	v_or_b32_e32 v5, 0x10000, v3
	v_cmp_eq_u32_sdwa vcc, v3, v4 src0_sel:WORD_0 src1_sel:DWORD
	v_cndmask_b32_e32 v4, v5, v3, vcc
; %bb.10:
	s_or_b64 exec, exec, s[2:3]
	flat_store_short_d16_hi v[1:2], v4 offset:2
.LBB118_11:
	s_or_b64 exec, exec, s[0:1]
	s_bitcmp1_b32 s4, 0
	s_cselect_b64 s[0:1], -1, 0
	s_add_i32 s4, s4, -1
	v_cmp_eq_u32_e32 vcc, s4, v0
	s_and_b64 s[0:1], s[0:1], vcc
	s_and_saveexec_b64 s[2:3], s[0:1]
	s_cbranch_execz .LBB118_17
; %bb.12:
	v_mov_b32_e32 v1, 0
	v_lshlrev_b64 v[0:1], 1, v[0:1]
	v_mov_b32_e32 v2, s6
	v_add_co_u32_e32 v0, vcc, s5, v0
	v_addc_co_u32_e32 v1, vcc, v2, v1, vcc
	flat_load_ushort v2, v[0:1]
	s_mov_b32 s0, 0x7f800000
	s_waitcnt vmcnt(0) lgkmcnt(0)
	v_lshlrev_b32_e32 v2, 16, v2
	v_mul_f32_e32 v2, s7, v2
	v_and_b32_e32 v3, 0x7f800000, v2
	v_cmp_ne_u32_e32 vcc, s0, v3
                                        ; implicit-def: $vgpr3
	s_and_saveexec_b64 s[0:1], vcc
	s_xor_b64 s[0:1], exec, s[0:1]
; %bb.13:
	v_bfe_u32 v3, v2, 16, 1
	s_movk_i32 s2, 0x7fff
	v_add3_u32 v3, v2, v3, s2
                                        ; implicit-def: $vgpr2
; %bb.14:
	s_andn2_saveexec_b64 s[0:1], s[0:1]
; %bb.15:
	v_mov_b32_e32 v3, 0
	v_or_b32_e32 v4, 0x10000, v2
	v_cmp_eq_u32_sdwa vcc, v2, v3 src0_sel:WORD_0 src1_sel:DWORD
	v_cndmask_b32_e32 v3, v4, v2, vcc
; %bb.16:
	s_or_b64 exec, exec, s[0:1]
	flat_store_short_d16_hi v[0:1], v3
.LBB118_17:
	s_endpgm
	.section	.rodata,"a",@progbits
	.p2align	6, 0x0
	.amdhsa_kernel _ZL22rocblas_sscal_2_kernelILi256E16rocblas_bfloat16fPKfPKPS0_EviT2_lT3_lli
		.amdhsa_group_segment_fixed_size 0
		.amdhsa_private_segment_fixed_size 0
		.amdhsa_kernarg_size 52
		.amdhsa_user_sgpr_count 6
		.amdhsa_user_sgpr_private_segment_buffer 1
		.amdhsa_user_sgpr_dispatch_ptr 0
		.amdhsa_user_sgpr_queue_ptr 0
		.amdhsa_user_sgpr_kernarg_segment_ptr 1
		.amdhsa_user_sgpr_dispatch_id 0
		.amdhsa_user_sgpr_flat_scratch_init 0
		.amdhsa_user_sgpr_private_segment_size 0
		.amdhsa_uses_dynamic_stack 0
		.amdhsa_system_sgpr_private_segment_wavefront_offset 0
		.amdhsa_system_sgpr_workgroup_id_x 1
		.amdhsa_system_sgpr_workgroup_id_y 0
		.amdhsa_system_sgpr_workgroup_id_z 1
		.amdhsa_system_sgpr_workgroup_info 0
		.amdhsa_system_vgpr_workitem_id 0
		.amdhsa_next_free_vgpr 6
		.amdhsa_next_free_sgpr 12
		.amdhsa_reserve_vcc 1
		.amdhsa_reserve_flat_scratch 0
		.amdhsa_float_round_mode_32 0
		.amdhsa_float_round_mode_16_64 0
		.amdhsa_float_denorm_mode_32 3
		.amdhsa_float_denorm_mode_16_64 3
		.amdhsa_dx10_clamp 1
		.amdhsa_ieee_mode 1
		.amdhsa_fp16_overflow 0
		.amdhsa_exception_fp_ieee_invalid_op 0
		.amdhsa_exception_fp_denorm_src 0
		.amdhsa_exception_fp_ieee_div_zero 0
		.amdhsa_exception_fp_ieee_overflow 0
		.amdhsa_exception_fp_ieee_underflow 0
		.amdhsa_exception_fp_ieee_inexact 0
		.amdhsa_exception_int_div_zero 0
	.end_amdhsa_kernel
	.section	.text._ZL22rocblas_sscal_2_kernelILi256E16rocblas_bfloat16fPKfPKPS0_EviT2_lT3_lli,"axG",@progbits,_ZL22rocblas_sscal_2_kernelILi256E16rocblas_bfloat16fPKfPKPS0_EviT2_lT3_lli,comdat
.Lfunc_end118:
	.size	_ZL22rocblas_sscal_2_kernelILi256E16rocblas_bfloat16fPKfPKPS0_EviT2_lT3_lli, .Lfunc_end118-_ZL22rocblas_sscal_2_kernelILi256E16rocblas_bfloat16fPKfPKPS0_EviT2_lT3_lli
                                        ; -- End function
	.set _ZL22rocblas_sscal_2_kernelILi256E16rocblas_bfloat16fPKfPKPS0_EviT2_lT3_lli.num_vgpr, 6
	.set _ZL22rocblas_sscal_2_kernelILi256E16rocblas_bfloat16fPKfPKPS0_EviT2_lT3_lli.num_agpr, 0
	.set _ZL22rocblas_sscal_2_kernelILi256E16rocblas_bfloat16fPKfPKPS0_EviT2_lT3_lli.numbered_sgpr, 12
	.set _ZL22rocblas_sscal_2_kernelILi256E16rocblas_bfloat16fPKfPKPS0_EviT2_lT3_lli.num_named_barrier, 0
	.set _ZL22rocblas_sscal_2_kernelILi256E16rocblas_bfloat16fPKfPKPS0_EviT2_lT3_lli.private_seg_size, 0
	.set _ZL22rocblas_sscal_2_kernelILi256E16rocblas_bfloat16fPKfPKPS0_EviT2_lT3_lli.uses_vcc, 1
	.set _ZL22rocblas_sscal_2_kernelILi256E16rocblas_bfloat16fPKfPKPS0_EviT2_lT3_lli.uses_flat_scratch, 0
	.set _ZL22rocblas_sscal_2_kernelILi256E16rocblas_bfloat16fPKfPKPS0_EviT2_lT3_lli.has_dyn_sized_stack, 0
	.set _ZL22rocblas_sscal_2_kernelILi256E16rocblas_bfloat16fPKfPKPS0_EviT2_lT3_lli.has_recursion, 0
	.set _ZL22rocblas_sscal_2_kernelILi256E16rocblas_bfloat16fPKfPKPS0_EviT2_lT3_lli.has_indirect_call, 0
	.section	.AMDGPU.csdata,"",@progbits
; Kernel info:
; codeLenInByte = 568
; TotalNumSgprs: 16
; NumVgprs: 6
; ScratchSize: 0
; MemoryBound: 0
; FloatMode: 240
; IeeeMode: 1
; LDSByteSize: 0 bytes/workgroup (compile time only)
; SGPRBlocks: 1
; VGPRBlocks: 1
; NumSGPRsForWavesPerEU: 16
; NumVGPRsForWavesPerEU: 6
; Occupancy: 10
; WaveLimiterHint : 1
; COMPUTE_PGM_RSRC2:SCRATCH_EN: 0
; COMPUTE_PGM_RSRC2:USER_SGPR: 6
; COMPUTE_PGM_RSRC2:TRAP_HANDLER: 0
; COMPUTE_PGM_RSRC2:TGID_X_EN: 1
; COMPUTE_PGM_RSRC2:TGID_Y_EN: 0
; COMPUTE_PGM_RSRC2:TGID_Z_EN: 1
; COMPUTE_PGM_RSRC2:TIDIG_COMP_CNT: 0
	.section	.text._ZL22rocblas_sscal_2_kernelILi256E16rocblas_bfloat16ffPKPS0_EviT2_lT3_lli,"axG",@progbits,_ZL22rocblas_sscal_2_kernelILi256E16rocblas_bfloat16ffPKPS0_EviT2_lT3_lli,comdat
	.globl	_ZL22rocblas_sscal_2_kernelILi256E16rocblas_bfloat16ffPKPS0_EviT2_lT3_lli ; -- Begin function _ZL22rocblas_sscal_2_kernelILi256E16rocblas_bfloat16ffPKPS0_EviT2_lT3_lli
	.p2align	8
	.type	_ZL22rocblas_sscal_2_kernelILi256E16rocblas_bfloat16ffPKPS0_EviT2_lT3_lli,@function
_ZL22rocblas_sscal_2_kernelILi256E16rocblas_bfloat16ffPKPS0_EviT2_lT3_lli: ; @_ZL22rocblas_sscal_2_kernelILi256E16rocblas_bfloat16ffPKPS0_EviT2_lT3_lli
; %bb.0:
	s_load_dwordx2 s[0:1], s[4:5], 0x0
	s_waitcnt lgkmcnt(0)
	v_cmp_eq_f32_e64 s[8:9], s1, 1.0
	s_and_b64 vcc, exec, s[8:9]
	s_cbranch_vccnz .LBB119_17
; %bb.1:
	s_load_dwordx4 s[8:11], s[4:5], 0x10
	s_mov_b32 s2, s7
	s_mov_b32 s3, 0
	s_lshl_b64 s[2:3], s[2:3], 3
	v_lshlrev_b32_e32 v0, 1, v0
	s_waitcnt lgkmcnt(0)
	s_add_u32 s2, s8, s2
	s_addc_u32 s3, s9, s3
	s_load_dwordx2 s[2:3], s[2:3], 0x0
	v_lshl_or_b32 v0, s6, 9, v0
	s_lshl_b64 s[4:5], s[10:11], 1
	v_or_b32_e32 v1, 1, v0
	v_cmp_gt_u32_e32 vcc, s0, v1
	s_waitcnt lgkmcnt(0)
	s_add_u32 s6, s2, s4
	s_addc_u32 s7, s3, s5
	s_and_saveexec_b64 s[2:3], vcc
	s_cbranch_execz .LBB119_11
; %bb.2:
	v_mov_b32_e32 v1, 0
	v_lshlrev_b64 v[1:2], 1, v[0:1]
	v_mov_b32_e32 v3, s7
	v_add_co_u32_e32 v1, vcc, s6, v1
	v_addc_co_u32_e32 v2, vcc, v3, v2, vcc
	flat_load_ushort v3, v[1:2]
	s_mov_b32 s4, 0x7f800000
	s_waitcnt vmcnt(0) lgkmcnt(0)
	v_lshlrev_b32_e32 v3, 16, v3
	v_mul_f32_e32 v3, s1, v3
	v_and_b32_e32 v4, 0x7f800000, v3
	v_cmp_ne_u32_e32 vcc, s4, v4
                                        ; implicit-def: $vgpr4
	s_and_saveexec_b64 s[4:5], vcc
	s_xor_b64 s[4:5], exec, s[4:5]
; %bb.3:
	v_bfe_u32 v4, v3, 16, 1
	s_movk_i32 s8, 0x7fff
	v_add3_u32 v4, v3, v4, s8
                                        ; implicit-def: $vgpr3
; %bb.4:
	s_andn2_saveexec_b64 s[4:5], s[4:5]
; %bb.5:
	v_mov_b32_e32 v4, 0
	v_or_b32_e32 v5, 0x10000, v3
	v_cmp_eq_u32_sdwa vcc, v3, v4 src0_sel:WORD_0 src1_sel:DWORD
	v_cndmask_b32_e32 v4, v5, v3, vcc
; %bb.6:
	s_or_b64 exec, exec, s[4:5]
	flat_load_ushort v3, v[1:2] offset:2
	s_mov_b32 s4, 0x7f800000
	flat_store_short_d16_hi v[1:2], v4
	s_waitcnt vmcnt(0) lgkmcnt(0)
	v_lshlrev_b32_e32 v3, 16, v3
	v_mul_f32_e32 v3, s1, v3
	v_and_b32_e32 v4, 0x7f800000, v3
	v_cmp_ne_u32_e32 vcc, s4, v4
                                        ; implicit-def: $vgpr4
	s_and_saveexec_b64 s[4:5], vcc
	s_xor_b64 s[4:5], exec, s[4:5]
; %bb.7:
	v_bfe_u32 v4, v3, 16, 1
	s_movk_i32 s8, 0x7fff
	v_add3_u32 v4, v3, v4, s8
                                        ; implicit-def: $vgpr3
; %bb.8:
	s_andn2_saveexec_b64 s[4:5], s[4:5]
; %bb.9:
	v_mov_b32_e32 v4, 0
	v_or_b32_e32 v5, 0x10000, v3
	v_cmp_eq_u32_sdwa vcc, v3, v4 src0_sel:WORD_0 src1_sel:DWORD
	v_cndmask_b32_e32 v4, v5, v3, vcc
; %bb.10:
	s_or_b64 exec, exec, s[4:5]
	flat_store_short_d16_hi v[1:2], v4 offset:2
.LBB119_11:
	s_or_b64 exec, exec, s[2:3]
	s_bitcmp1_b32 s0, 0
	s_cselect_b64 s[2:3], -1, 0
	s_add_i32 s0, s0, -1
	v_cmp_eq_u32_e32 vcc, s0, v0
	s_and_b64 s[2:3], s[2:3], vcc
	s_and_saveexec_b64 s[4:5], s[2:3]
	s_cbranch_execz .LBB119_17
; %bb.12:
	v_mov_b32_e32 v1, 0
	v_lshlrev_b64 v[0:1], 1, v[0:1]
	v_mov_b32_e32 v2, s7
	v_add_co_u32_e32 v0, vcc, s6, v0
	v_addc_co_u32_e32 v1, vcc, v2, v1, vcc
	flat_load_ushort v2, v[0:1]
	s_mov_b32 s0, 0x7f800000
	s_waitcnt vmcnt(0) lgkmcnt(0)
	v_lshlrev_b32_e32 v2, 16, v2
	v_mul_f32_e32 v2, s1, v2
	v_and_b32_e32 v3, 0x7f800000, v2
	v_cmp_ne_u32_e32 vcc, s0, v3
                                        ; implicit-def: $vgpr3
	s_and_saveexec_b64 s[0:1], vcc
	s_xor_b64 s[0:1], exec, s[0:1]
; %bb.13:
	v_bfe_u32 v3, v2, 16, 1
	s_movk_i32 s2, 0x7fff
	v_add3_u32 v3, v2, v3, s2
                                        ; implicit-def: $vgpr2
; %bb.14:
	s_andn2_saveexec_b64 s[0:1], s[0:1]
; %bb.15:
	v_mov_b32_e32 v3, 0
	v_or_b32_e32 v4, 0x10000, v2
	v_cmp_eq_u32_sdwa vcc, v2, v3 src0_sel:WORD_0 src1_sel:DWORD
	v_cndmask_b32_e32 v3, v4, v2, vcc
; %bb.16:
	s_or_b64 exec, exec, s[0:1]
	flat_store_short_d16_hi v[0:1], v3
.LBB119_17:
	s_endpgm
	.section	.rodata,"a",@progbits
	.p2align	6, 0x0
	.amdhsa_kernel _ZL22rocblas_sscal_2_kernelILi256E16rocblas_bfloat16ffPKPS0_EviT2_lT3_lli
		.amdhsa_group_segment_fixed_size 0
		.amdhsa_private_segment_fixed_size 0
		.amdhsa_kernarg_size 44
		.amdhsa_user_sgpr_count 6
		.amdhsa_user_sgpr_private_segment_buffer 1
		.amdhsa_user_sgpr_dispatch_ptr 0
		.amdhsa_user_sgpr_queue_ptr 0
		.amdhsa_user_sgpr_kernarg_segment_ptr 1
		.amdhsa_user_sgpr_dispatch_id 0
		.amdhsa_user_sgpr_flat_scratch_init 0
		.amdhsa_user_sgpr_private_segment_size 0
		.amdhsa_uses_dynamic_stack 0
		.amdhsa_system_sgpr_private_segment_wavefront_offset 0
		.amdhsa_system_sgpr_workgroup_id_x 1
		.amdhsa_system_sgpr_workgroup_id_y 0
		.amdhsa_system_sgpr_workgroup_id_z 1
		.amdhsa_system_sgpr_workgroup_info 0
		.amdhsa_system_vgpr_workitem_id 0
		.amdhsa_next_free_vgpr 6
		.amdhsa_next_free_sgpr 12
		.amdhsa_reserve_vcc 1
		.amdhsa_reserve_flat_scratch 0
		.amdhsa_float_round_mode_32 0
		.amdhsa_float_round_mode_16_64 0
		.amdhsa_float_denorm_mode_32 3
		.amdhsa_float_denorm_mode_16_64 3
		.amdhsa_dx10_clamp 1
		.amdhsa_ieee_mode 1
		.amdhsa_fp16_overflow 0
		.amdhsa_exception_fp_ieee_invalid_op 0
		.amdhsa_exception_fp_denorm_src 0
		.amdhsa_exception_fp_ieee_div_zero 0
		.amdhsa_exception_fp_ieee_overflow 0
		.amdhsa_exception_fp_ieee_underflow 0
		.amdhsa_exception_fp_ieee_inexact 0
		.amdhsa_exception_int_div_zero 0
	.end_amdhsa_kernel
	.section	.text._ZL22rocblas_sscal_2_kernelILi256E16rocblas_bfloat16ffPKPS0_EviT2_lT3_lli,"axG",@progbits,_ZL22rocblas_sscal_2_kernelILi256E16rocblas_bfloat16ffPKPS0_EviT2_lT3_lli,comdat
.Lfunc_end119:
	.size	_ZL22rocblas_sscal_2_kernelILi256E16rocblas_bfloat16ffPKPS0_EviT2_lT3_lli, .Lfunc_end119-_ZL22rocblas_sscal_2_kernelILi256E16rocblas_bfloat16ffPKPS0_EviT2_lT3_lli
                                        ; -- End function
	.set _ZL22rocblas_sscal_2_kernelILi256E16rocblas_bfloat16ffPKPS0_EviT2_lT3_lli.num_vgpr, 6
	.set _ZL22rocblas_sscal_2_kernelILi256E16rocblas_bfloat16ffPKPS0_EviT2_lT3_lli.num_agpr, 0
	.set _ZL22rocblas_sscal_2_kernelILi256E16rocblas_bfloat16ffPKPS0_EviT2_lT3_lli.numbered_sgpr, 12
	.set _ZL22rocblas_sscal_2_kernelILi256E16rocblas_bfloat16ffPKPS0_EviT2_lT3_lli.num_named_barrier, 0
	.set _ZL22rocblas_sscal_2_kernelILi256E16rocblas_bfloat16ffPKPS0_EviT2_lT3_lli.private_seg_size, 0
	.set _ZL22rocblas_sscal_2_kernelILi256E16rocblas_bfloat16ffPKPS0_EviT2_lT3_lli.uses_vcc, 1
	.set _ZL22rocblas_sscal_2_kernelILi256E16rocblas_bfloat16ffPKPS0_EviT2_lT3_lli.uses_flat_scratch, 0
	.set _ZL22rocblas_sscal_2_kernelILi256E16rocblas_bfloat16ffPKPS0_EviT2_lT3_lli.has_dyn_sized_stack, 0
	.set _ZL22rocblas_sscal_2_kernelILi256E16rocblas_bfloat16ffPKPS0_EviT2_lT3_lli.has_recursion, 0
	.set _ZL22rocblas_sscal_2_kernelILi256E16rocblas_bfloat16ffPKPS0_EviT2_lT3_lli.has_indirect_call, 0
	.section	.AMDGPU.csdata,"",@progbits
; Kernel info:
; codeLenInByte = 520
; TotalNumSgprs: 16
; NumVgprs: 6
; ScratchSize: 0
; MemoryBound: 0
; FloatMode: 240
; IeeeMode: 1
; LDSByteSize: 0 bytes/workgroup (compile time only)
; SGPRBlocks: 1
; VGPRBlocks: 1
; NumSGPRsForWavesPerEU: 16
; NumVGPRsForWavesPerEU: 6
; Occupancy: 10
; WaveLimiterHint : 1
; COMPUTE_PGM_RSRC2:SCRATCH_EN: 0
; COMPUTE_PGM_RSRC2:USER_SGPR: 6
; COMPUTE_PGM_RSRC2:TRAP_HANDLER: 0
; COMPUTE_PGM_RSRC2:TGID_X_EN: 1
; COMPUTE_PGM_RSRC2:TGID_Y_EN: 0
; COMPUTE_PGM_RSRC2:TGID_Z_EN: 1
; COMPUTE_PGM_RSRC2:TIDIG_COMP_CNT: 0
	.section	.text._ZL19rocblas_scal_kernelIiLi256E16rocblas_bfloat16fPKfPKPS0_EviT3_lT4_lT_li,"axG",@progbits,_ZL19rocblas_scal_kernelIiLi256E16rocblas_bfloat16fPKfPKPS0_EviT3_lT4_lT_li,comdat
	.globl	_ZL19rocblas_scal_kernelIiLi256E16rocblas_bfloat16fPKfPKPS0_EviT3_lT4_lT_li ; -- Begin function _ZL19rocblas_scal_kernelIiLi256E16rocblas_bfloat16fPKfPKPS0_EviT3_lT4_lT_li
	.p2align	8
	.type	_ZL19rocblas_scal_kernelIiLi256E16rocblas_bfloat16fPKfPKPS0_EviT3_lT4_lT_li,@function
_ZL19rocblas_scal_kernelIiLi256E16rocblas_bfloat16fPKfPKPS0_EviT3_lT4_lT_li: ; @_ZL19rocblas_scal_kernelIiLi256E16rocblas_bfloat16fPKfPKPS0_EviT3_lT4_lT_li
; %bb.0:
	s_load_dwordx8 s[8:15], s[4:5], 0x8
	v_lshl_or_b32 v0, s6, 8, v0
	s_mov_b32 s0, s7
	s_waitcnt lgkmcnt(0)
	s_mul_i32 s1, s11, s7
	s_mul_hi_u32 s2, s10, s7
	s_add_i32 s3, s2, s1
	s_mul_i32 s2, s10, s7
	s_lshl_b64 s[2:3], s[2:3], 2
	s_add_u32 s8, s8, s2
	s_addc_u32 s9, s9, s3
	s_load_dword s2, s[8:9], 0x0
	s_load_dword s1, s[4:5], 0x0
	s_waitcnt lgkmcnt(0)
	v_cmp_neq_f32_e64 s[6:7], s2, 1.0
	v_cmp_gt_u32_e32 vcc, s1, v0
	s_and_b64 s[6:7], vcc, s[6:7]
	s_and_saveexec_b64 s[8:9], s[6:7]
	s_cbranch_execz .LBB120_6
; %bb.1:
	s_load_dword s3, s[4:5], 0x28
	s_mov_b32 s1, 0
	s_lshl_b64 s[0:1], s[0:1], 3
	s_waitcnt lgkmcnt(0)
	s_ashr_i32 s6, s3, 31
	v_mad_u64_u32 v[1:2], s[4:5], s3, v0, 0
	s_add_u32 s0, s12, s0
	s_addc_u32 s1, s13, s1
	s_load_dwordx2 s[0:1], s[0:1], 0x0
	v_mad_u64_u32 v[2:3], s[4:5], s6, v0, v[2:3]
	s_lshl_b64 s[4:5], s[14:15], 1
	s_waitcnt lgkmcnt(0)
	s_add_u32 s0, s0, s4
	v_lshlrev_b64 v[0:1], 1, v[1:2]
	s_addc_u32 s1, s1, s5
	v_mov_b32_e32 v2, s1
	v_add_co_u32_e32 v0, vcc, s0, v0
	v_addc_co_u32_e32 v1, vcc, v2, v1, vcc
	flat_load_ushort v2, v[0:1]
	s_mov_b32 s0, 0x7f800000
	s_waitcnt vmcnt(0) lgkmcnt(0)
	v_lshlrev_b32_e32 v2, 16, v2
	v_mul_f32_e32 v2, s2, v2
	v_and_b32_e32 v3, 0x7f800000, v2
	v_cmp_ne_u32_e32 vcc, s0, v3
                                        ; implicit-def: $vgpr3
	s_and_saveexec_b64 s[0:1], vcc
	s_xor_b64 s[0:1], exec, s[0:1]
; %bb.2:
	v_bfe_u32 v3, v2, 16, 1
	s_movk_i32 s2, 0x7fff
	v_add3_u32 v3, v2, v3, s2
                                        ; implicit-def: $vgpr2
; %bb.3:
	s_andn2_saveexec_b64 s[0:1], s[0:1]
; %bb.4:
	v_mov_b32_e32 v3, 0
	v_or_b32_e32 v4, 0x10000, v2
	v_cmp_eq_u32_sdwa vcc, v2, v3 src0_sel:WORD_0 src1_sel:DWORD
	v_cndmask_b32_e32 v3, v4, v2, vcc
; %bb.5:
	s_or_b64 exec, exec, s[0:1]
	flat_store_short_d16_hi v[0:1], v3
.LBB120_6:
	s_endpgm
	.section	.rodata,"a",@progbits
	.p2align	6, 0x0
	.amdhsa_kernel _ZL19rocblas_scal_kernelIiLi256E16rocblas_bfloat16fPKfPKPS0_EviT3_lT4_lT_li
		.amdhsa_group_segment_fixed_size 0
		.amdhsa_private_segment_fixed_size 0
		.amdhsa_kernarg_size 60
		.amdhsa_user_sgpr_count 6
		.amdhsa_user_sgpr_private_segment_buffer 1
		.amdhsa_user_sgpr_dispatch_ptr 0
		.amdhsa_user_sgpr_queue_ptr 0
		.amdhsa_user_sgpr_kernarg_segment_ptr 1
		.amdhsa_user_sgpr_dispatch_id 0
		.amdhsa_user_sgpr_flat_scratch_init 0
		.amdhsa_user_sgpr_private_segment_size 0
		.amdhsa_uses_dynamic_stack 0
		.amdhsa_system_sgpr_private_segment_wavefront_offset 0
		.amdhsa_system_sgpr_workgroup_id_x 1
		.amdhsa_system_sgpr_workgroup_id_y 0
		.amdhsa_system_sgpr_workgroup_id_z 1
		.amdhsa_system_sgpr_workgroup_info 0
		.amdhsa_system_vgpr_workitem_id 0
		.amdhsa_next_free_vgpr 5
		.amdhsa_next_free_sgpr 16
		.amdhsa_reserve_vcc 1
		.amdhsa_reserve_flat_scratch 0
		.amdhsa_float_round_mode_32 0
		.amdhsa_float_round_mode_16_64 0
		.amdhsa_float_denorm_mode_32 3
		.amdhsa_float_denorm_mode_16_64 3
		.amdhsa_dx10_clamp 1
		.amdhsa_ieee_mode 1
		.amdhsa_fp16_overflow 0
		.amdhsa_exception_fp_ieee_invalid_op 0
		.amdhsa_exception_fp_denorm_src 0
		.amdhsa_exception_fp_ieee_div_zero 0
		.amdhsa_exception_fp_ieee_overflow 0
		.amdhsa_exception_fp_ieee_underflow 0
		.amdhsa_exception_fp_ieee_inexact 0
		.amdhsa_exception_int_div_zero 0
	.end_amdhsa_kernel
	.section	.text._ZL19rocblas_scal_kernelIiLi256E16rocblas_bfloat16fPKfPKPS0_EviT3_lT4_lT_li,"axG",@progbits,_ZL19rocblas_scal_kernelIiLi256E16rocblas_bfloat16fPKfPKPS0_EviT3_lT4_lT_li,comdat
.Lfunc_end120:
	.size	_ZL19rocblas_scal_kernelIiLi256E16rocblas_bfloat16fPKfPKPS0_EviT3_lT4_lT_li, .Lfunc_end120-_ZL19rocblas_scal_kernelIiLi256E16rocblas_bfloat16fPKfPKPS0_EviT3_lT4_lT_li
                                        ; -- End function
	.set _ZL19rocblas_scal_kernelIiLi256E16rocblas_bfloat16fPKfPKPS0_EviT3_lT4_lT_li.num_vgpr, 5
	.set _ZL19rocblas_scal_kernelIiLi256E16rocblas_bfloat16fPKfPKPS0_EviT3_lT4_lT_li.num_agpr, 0
	.set _ZL19rocblas_scal_kernelIiLi256E16rocblas_bfloat16fPKfPKPS0_EviT3_lT4_lT_li.numbered_sgpr, 16
	.set _ZL19rocblas_scal_kernelIiLi256E16rocblas_bfloat16fPKfPKPS0_EviT3_lT4_lT_li.num_named_barrier, 0
	.set _ZL19rocblas_scal_kernelIiLi256E16rocblas_bfloat16fPKfPKPS0_EviT3_lT4_lT_li.private_seg_size, 0
	.set _ZL19rocblas_scal_kernelIiLi256E16rocblas_bfloat16fPKfPKPS0_EviT3_lT4_lT_li.uses_vcc, 1
	.set _ZL19rocblas_scal_kernelIiLi256E16rocblas_bfloat16fPKfPKPS0_EviT3_lT4_lT_li.uses_flat_scratch, 0
	.set _ZL19rocblas_scal_kernelIiLi256E16rocblas_bfloat16fPKfPKPS0_EviT3_lT4_lT_li.has_dyn_sized_stack, 0
	.set _ZL19rocblas_scal_kernelIiLi256E16rocblas_bfloat16fPKfPKPS0_EviT3_lT4_lT_li.has_recursion, 0
	.set _ZL19rocblas_scal_kernelIiLi256E16rocblas_bfloat16fPKfPKPS0_EviT3_lT4_lT_li.has_indirect_call, 0
	.section	.AMDGPU.csdata,"",@progbits
; Kernel info:
; codeLenInByte = 300
; TotalNumSgprs: 20
; NumVgprs: 5
; ScratchSize: 0
; MemoryBound: 0
; FloatMode: 240
; IeeeMode: 1
; LDSByteSize: 0 bytes/workgroup (compile time only)
; SGPRBlocks: 2
; VGPRBlocks: 1
; NumSGPRsForWavesPerEU: 20
; NumVGPRsForWavesPerEU: 5
; Occupancy: 10
; WaveLimiterHint : 1
; COMPUTE_PGM_RSRC2:SCRATCH_EN: 0
; COMPUTE_PGM_RSRC2:USER_SGPR: 6
; COMPUTE_PGM_RSRC2:TRAP_HANDLER: 0
; COMPUTE_PGM_RSRC2:TGID_X_EN: 1
; COMPUTE_PGM_RSRC2:TGID_Y_EN: 0
; COMPUTE_PGM_RSRC2:TGID_Z_EN: 1
; COMPUTE_PGM_RSRC2:TIDIG_COMP_CNT: 0
	.section	.text._ZL19rocblas_scal_kernelIiLi256E16rocblas_bfloat16ffPKPS0_EviT3_lT4_lT_li,"axG",@progbits,_ZL19rocblas_scal_kernelIiLi256E16rocblas_bfloat16ffPKPS0_EviT3_lT4_lT_li,comdat
	.globl	_ZL19rocblas_scal_kernelIiLi256E16rocblas_bfloat16ffPKPS0_EviT3_lT4_lT_li ; -- Begin function _ZL19rocblas_scal_kernelIiLi256E16rocblas_bfloat16ffPKPS0_EviT3_lT4_lT_li
	.p2align	8
	.type	_ZL19rocblas_scal_kernelIiLi256E16rocblas_bfloat16ffPKPS0_EviT3_lT4_lT_li,@function
_ZL19rocblas_scal_kernelIiLi256E16rocblas_bfloat16ffPKPS0_EviT3_lT4_lT_li: ; @_ZL19rocblas_scal_kernelIiLi256E16rocblas_bfloat16ffPKPS0_EviT3_lT4_lT_li
; %bb.0:
	s_load_dwordx2 s[0:1], s[4:5], 0x0
	v_lshl_or_b32 v0, s6, 8, v0
	s_mov_b32 s2, s7
	s_waitcnt lgkmcnt(0)
	v_cmp_neq_f32_e64 s[6:7], s1, 1.0
	v_cmp_gt_u32_e32 vcc, s0, v0
	s_and_b64 s[6:7], vcc, s[6:7]
	s_and_saveexec_b64 s[8:9], s[6:7]
	s_cbranch_execz .LBB121_6
; %bb.1:
	s_load_dword s0, s[4:5], 0x20
	s_load_dwordx4 s[8:11], s[4:5], 0x10
	s_mov_b32 s3, 0
	s_lshl_b64 s[2:3], s[2:3], 3
	s_waitcnt lgkmcnt(0)
	s_ashr_i32 s6, s0, 31
	v_mad_u64_u32 v[1:2], s[4:5], s0, v0, 0
	s_add_u32 s2, s8, s2
	s_addc_u32 s3, s9, s3
	s_load_dwordx2 s[2:3], s[2:3], 0x0
	v_mad_u64_u32 v[2:3], s[4:5], s6, v0, v[2:3]
	s_lshl_b64 s[4:5], s[10:11], 1
	s_waitcnt lgkmcnt(0)
	s_add_u32 s0, s2, s4
	v_lshlrev_b64 v[0:1], 1, v[1:2]
	s_addc_u32 s2, s3, s5
	v_mov_b32_e32 v2, s2
	v_add_co_u32_e32 v0, vcc, s0, v0
	v_addc_co_u32_e32 v1, vcc, v2, v1, vcc
	flat_load_ushort v2, v[0:1]
	s_mov_b32 s0, 0x7f800000
	s_waitcnt vmcnt(0) lgkmcnt(0)
	v_lshlrev_b32_e32 v2, 16, v2
	v_mul_f32_e32 v2, s1, v2
	v_and_b32_e32 v3, 0x7f800000, v2
	v_cmp_ne_u32_e32 vcc, s0, v3
                                        ; implicit-def: $vgpr3
	s_and_saveexec_b64 s[0:1], vcc
	s_xor_b64 s[0:1], exec, s[0:1]
; %bb.2:
	v_bfe_u32 v3, v2, 16, 1
	s_movk_i32 s2, 0x7fff
	v_add3_u32 v3, v2, v3, s2
                                        ; implicit-def: $vgpr2
; %bb.3:
	s_andn2_saveexec_b64 s[0:1], s[0:1]
; %bb.4:
	v_mov_b32_e32 v3, 0
	v_or_b32_e32 v4, 0x10000, v2
	v_cmp_eq_u32_sdwa vcc, v2, v3 src0_sel:WORD_0 src1_sel:DWORD
	v_cndmask_b32_e32 v3, v4, v2, vcc
; %bb.5:
	s_or_b64 exec, exec, s[0:1]
	flat_store_short_d16_hi v[0:1], v3
.LBB121_6:
	s_endpgm
	.section	.rodata,"a",@progbits
	.p2align	6, 0x0
	.amdhsa_kernel _ZL19rocblas_scal_kernelIiLi256E16rocblas_bfloat16ffPKPS0_EviT3_lT4_lT_li
		.amdhsa_group_segment_fixed_size 0
		.amdhsa_private_segment_fixed_size 0
		.amdhsa_kernarg_size 52
		.amdhsa_user_sgpr_count 6
		.amdhsa_user_sgpr_private_segment_buffer 1
		.amdhsa_user_sgpr_dispatch_ptr 0
		.amdhsa_user_sgpr_queue_ptr 0
		.amdhsa_user_sgpr_kernarg_segment_ptr 1
		.amdhsa_user_sgpr_dispatch_id 0
		.amdhsa_user_sgpr_flat_scratch_init 0
		.amdhsa_user_sgpr_private_segment_size 0
		.amdhsa_uses_dynamic_stack 0
		.amdhsa_system_sgpr_private_segment_wavefront_offset 0
		.amdhsa_system_sgpr_workgroup_id_x 1
		.amdhsa_system_sgpr_workgroup_id_y 0
		.amdhsa_system_sgpr_workgroup_id_z 1
		.amdhsa_system_sgpr_workgroup_info 0
		.amdhsa_system_vgpr_workitem_id 0
		.amdhsa_next_free_vgpr 5
		.amdhsa_next_free_sgpr 12
		.amdhsa_reserve_vcc 1
		.amdhsa_reserve_flat_scratch 0
		.amdhsa_float_round_mode_32 0
		.amdhsa_float_round_mode_16_64 0
		.amdhsa_float_denorm_mode_32 3
		.amdhsa_float_denorm_mode_16_64 3
		.amdhsa_dx10_clamp 1
		.amdhsa_ieee_mode 1
		.amdhsa_fp16_overflow 0
		.amdhsa_exception_fp_ieee_invalid_op 0
		.amdhsa_exception_fp_denorm_src 0
		.amdhsa_exception_fp_ieee_div_zero 0
		.amdhsa_exception_fp_ieee_overflow 0
		.amdhsa_exception_fp_ieee_underflow 0
		.amdhsa_exception_fp_ieee_inexact 0
		.amdhsa_exception_int_div_zero 0
	.end_amdhsa_kernel
	.section	.text._ZL19rocblas_scal_kernelIiLi256E16rocblas_bfloat16ffPKPS0_EviT3_lT4_lT_li,"axG",@progbits,_ZL19rocblas_scal_kernelIiLi256E16rocblas_bfloat16ffPKPS0_EviT3_lT4_lT_li,comdat
.Lfunc_end121:
	.size	_ZL19rocblas_scal_kernelIiLi256E16rocblas_bfloat16ffPKPS0_EviT3_lT4_lT_li, .Lfunc_end121-_ZL19rocblas_scal_kernelIiLi256E16rocblas_bfloat16ffPKPS0_EviT3_lT4_lT_li
                                        ; -- End function
	.set _ZL19rocblas_scal_kernelIiLi256E16rocblas_bfloat16ffPKPS0_EviT3_lT4_lT_li.num_vgpr, 5
	.set _ZL19rocblas_scal_kernelIiLi256E16rocblas_bfloat16ffPKPS0_EviT3_lT4_lT_li.num_agpr, 0
	.set _ZL19rocblas_scal_kernelIiLi256E16rocblas_bfloat16ffPKPS0_EviT3_lT4_lT_li.numbered_sgpr, 12
	.set _ZL19rocblas_scal_kernelIiLi256E16rocblas_bfloat16ffPKPS0_EviT3_lT4_lT_li.num_named_barrier, 0
	.set _ZL19rocblas_scal_kernelIiLi256E16rocblas_bfloat16ffPKPS0_EviT3_lT4_lT_li.private_seg_size, 0
	.set _ZL19rocblas_scal_kernelIiLi256E16rocblas_bfloat16ffPKPS0_EviT3_lT4_lT_li.uses_vcc, 1
	.set _ZL19rocblas_scal_kernelIiLi256E16rocblas_bfloat16ffPKPS0_EviT3_lT4_lT_li.uses_flat_scratch, 0
	.set _ZL19rocblas_scal_kernelIiLi256E16rocblas_bfloat16ffPKPS0_EviT3_lT4_lT_li.has_dyn_sized_stack, 0
	.set _ZL19rocblas_scal_kernelIiLi256E16rocblas_bfloat16ffPKPS0_EviT3_lT4_lT_li.has_recursion, 0
	.set _ZL19rocblas_scal_kernelIiLi256E16rocblas_bfloat16ffPKPS0_EviT3_lT4_lT_li.has_indirect_call, 0
	.section	.AMDGPU.csdata,"",@progbits
; Kernel info:
; codeLenInByte = 260
; TotalNumSgprs: 16
; NumVgprs: 5
; ScratchSize: 0
; MemoryBound: 0
; FloatMode: 240
; IeeeMode: 1
; LDSByteSize: 0 bytes/workgroup (compile time only)
; SGPRBlocks: 1
; VGPRBlocks: 1
; NumSGPRsForWavesPerEU: 16
; NumVGPRsForWavesPerEU: 5
; Occupancy: 10
; WaveLimiterHint : 1
; COMPUTE_PGM_RSRC2:SCRATCH_EN: 0
; COMPUTE_PGM_RSRC2:USER_SGPR: 6
; COMPUTE_PGM_RSRC2:TRAP_HANDLER: 0
; COMPUTE_PGM_RSRC2:TGID_X_EN: 1
; COMPUTE_PGM_RSRC2:TGID_Y_EN: 0
; COMPUTE_PGM_RSRC2:TGID_Z_EN: 1
; COMPUTE_PGM_RSRC2:TIDIG_COMP_CNT: 0
	.section	.text._ZL19rocblas_scal_kernelIlLi256E16rocblas_bfloat16fPKfPKPS0_EviT3_lT4_lT_li,"axG",@progbits,_ZL19rocblas_scal_kernelIlLi256E16rocblas_bfloat16fPKfPKPS0_EviT3_lT4_lT_li,comdat
	.globl	_ZL19rocblas_scal_kernelIlLi256E16rocblas_bfloat16fPKfPKPS0_EviT3_lT4_lT_li ; -- Begin function _ZL19rocblas_scal_kernelIlLi256E16rocblas_bfloat16fPKfPKPS0_EviT3_lT4_lT_li
	.p2align	8
	.type	_ZL19rocblas_scal_kernelIlLi256E16rocblas_bfloat16fPKfPKPS0_EviT3_lT4_lT_li,@function
_ZL19rocblas_scal_kernelIlLi256E16rocblas_bfloat16fPKfPKPS0_EviT3_lT4_lT_li: ; @_ZL19rocblas_scal_kernelIlLi256E16rocblas_bfloat16fPKfPKPS0_EviT3_lT4_lT_li
; %bb.0:
	s_load_dwordx8 s[8:15], s[4:5], 0x8
	v_lshl_or_b32 v0, s6, 8, v0
	s_mov_b32 s0, s7
	s_waitcnt lgkmcnt(0)
	s_mul_i32 s1, s11, s7
	s_mul_hi_u32 s2, s10, s7
	s_add_i32 s3, s2, s1
	s_mul_i32 s2, s10, s7
	s_lshl_b64 s[2:3], s[2:3], 2
	s_add_u32 s8, s8, s2
	s_addc_u32 s9, s9, s3
	s_load_dword s2, s[8:9], 0x0
	s_load_dword s1, s[4:5], 0x0
	s_waitcnt lgkmcnt(0)
	v_cmp_neq_f32_e64 s[6:7], s2, 1.0
	v_cmp_gt_u32_e32 vcc, s1, v0
	s_and_b64 s[6:7], vcc, s[6:7]
	s_and_saveexec_b64 s[8:9], s[6:7]
	s_cbranch_execz .LBB122_6
; %bb.1:
	s_load_dwordx2 s[4:5], s[4:5], 0x28
	s_mov_b32 s1, 0
	s_lshl_b64 s[0:1], s[0:1], 3
	s_add_u32 s0, s12, s0
	s_addc_u32 s1, s13, s1
	s_waitcnt lgkmcnt(0)
	v_mad_u64_u32 v[1:2], s[6:7], s4, v0, 0
	s_load_dwordx2 s[0:1], s[0:1], 0x0
	v_mad_u64_u32 v[2:3], s[4:5], s5, v0, v[2:3]
	s_lshl_b64 s[4:5], s[14:15], 1
	s_waitcnt lgkmcnt(0)
	s_add_u32 s0, s0, s4
	v_lshlrev_b64 v[0:1], 1, v[1:2]
	s_addc_u32 s1, s1, s5
	v_mov_b32_e32 v2, s1
	v_add_co_u32_e32 v0, vcc, s0, v0
	v_addc_co_u32_e32 v1, vcc, v2, v1, vcc
	flat_load_ushort v2, v[0:1]
	s_mov_b32 s0, 0x7f800000
	s_waitcnt vmcnt(0) lgkmcnt(0)
	v_lshlrev_b32_e32 v2, 16, v2
	v_mul_f32_e32 v2, s2, v2
	v_and_b32_e32 v3, 0x7f800000, v2
	v_cmp_ne_u32_e32 vcc, s0, v3
                                        ; implicit-def: $vgpr3
	s_and_saveexec_b64 s[0:1], vcc
	s_xor_b64 s[0:1], exec, s[0:1]
; %bb.2:
	v_bfe_u32 v3, v2, 16, 1
	s_movk_i32 s2, 0x7fff
	v_add3_u32 v3, v2, v3, s2
                                        ; implicit-def: $vgpr2
; %bb.3:
	s_andn2_saveexec_b64 s[0:1], s[0:1]
; %bb.4:
	v_mov_b32_e32 v3, 0
	v_or_b32_e32 v4, 0x10000, v2
	v_cmp_eq_u32_sdwa vcc, v2, v3 src0_sel:WORD_0 src1_sel:DWORD
	v_cndmask_b32_e32 v3, v4, v2, vcc
; %bb.5:
	s_or_b64 exec, exec, s[0:1]
	flat_store_short_d16_hi v[0:1], v3
.LBB122_6:
	s_endpgm
	.section	.rodata,"a",@progbits
	.p2align	6, 0x0
	.amdhsa_kernel _ZL19rocblas_scal_kernelIlLi256E16rocblas_bfloat16fPKfPKPS0_EviT3_lT4_lT_li
		.amdhsa_group_segment_fixed_size 0
		.amdhsa_private_segment_fixed_size 0
		.amdhsa_kernarg_size 60
		.amdhsa_user_sgpr_count 6
		.amdhsa_user_sgpr_private_segment_buffer 1
		.amdhsa_user_sgpr_dispatch_ptr 0
		.amdhsa_user_sgpr_queue_ptr 0
		.amdhsa_user_sgpr_kernarg_segment_ptr 1
		.amdhsa_user_sgpr_dispatch_id 0
		.amdhsa_user_sgpr_flat_scratch_init 0
		.amdhsa_user_sgpr_private_segment_size 0
		.amdhsa_uses_dynamic_stack 0
		.amdhsa_system_sgpr_private_segment_wavefront_offset 0
		.amdhsa_system_sgpr_workgroup_id_x 1
		.amdhsa_system_sgpr_workgroup_id_y 0
		.amdhsa_system_sgpr_workgroup_id_z 1
		.amdhsa_system_sgpr_workgroup_info 0
		.amdhsa_system_vgpr_workitem_id 0
		.amdhsa_next_free_vgpr 5
		.amdhsa_next_free_sgpr 16
		.amdhsa_reserve_vcc 1
		.amdhsa_reserve_flat_scratch 0
		.amdhsa_float_round_mode_32 0
		.amdhsa_float_round_mode_16_64 0
		.amdhsa_float_denorm_mode_32 3
		.amdhsa_float_denorm_mode_16_64 3
		.amdhsa_dx10_clamp 1
		.amdhsa_ieee_mode 1
		.amdhsa_fp16_overflow 0
		.amdhsa_exception_fp_ieee_invalid_op 0
		.amdhsa_exception_fp_denorm_src 0
		.amdhsa_exception_fp_ieee_div_zero 0
		.amdhsa_exception_fp_ieee_overflow 0
		.amdhsa_exception_fp_ieee_underflow 0
		.amdhsa_exception_fp_ieee_inexact 0
		.amdhsa_exception_int_div_zero 0
	.end_amdhsa_kernel
	.section	.text._ZL19rocblas_scal_kernelIlLi256E16rocblas_bfloat16fPKfPKPS0_EviT3_lT4_lT_li,"axG",@progbits,_ZL19rocblas_scal_kernelIlLi256E16rocblas_bfloat16fPKfPKPS0_EviT3_lT4_lT_li,comdat
.Lfunc_end122:
	.size	_ZL19rocblas_scal_kernelIlLi256E16rocblas_bfloat16fPKfPKPS0_EviT3_lT4_lT_li, .Lfunc_end122-_ZL19rocblas_scal_kernelIlLi256E16rocblas_bfloat16fPKfPKPS0_EviT3_lT4_lT_li
                                        ; -- End function
	.set _ZL19rocblas_scal_kernelIlLi256E16rocblas_bfloat16fPKfPKPS0_EviT3_lT4_lT_li.num_vgpr, 5
	.set _ZL19rocblas_scal_kernelIlLi256E16rocblas_bfloat16fPKfPKPS0_EviT3_lT4_lT_li.num_agpr, 0
	.set _ZL19rocblas_scal_kernelIlLi256E16rocblas_bfloat16fPKfPKPS0_EviT3_lT4_lT_li.numbered_sgpr, 16
	.set _ZL19rocblas_scal_kernelIlLi256E16rocblas_bfloat16fPKfPKPS0_EviT3_lT4_lT_li.num_named_barrier, 0
	.set _ZL19rocblas_scal_kernelIlLi256E16rocblas_bfloat16fPKfPKPS0_EviT3_lT4_lT_li.private_seg_size, 0
	.set _ZL19rocblas_scal_kernelIlLi256E16rocblas_bfloat16fPKfPKPS0_EviT3_lT4_lT_li.uses_vcc, 1
	.set _ZL19rocblas_scal_kernelIlLi256E16rocblas_bfloat16fPKfPKPS0_EviT3_lT4_lT_li.uses_flat_scratch, 0
	.set _ZL19rocblas_scal_kernelIlLi256E16rocblas_bfloat16fPKfPKPS0_EviT3_lT4_lT_li.has_dyn_sized_stack, 0
	.set _ZL19rocblas_scal_kernelIlLi256E16rocblas_bfloat16fPKfPKPS0_EviT3_lT4_lT_li.has_recursion, 0
	.set _ZL19rocblas_scal_kernelIlLi256E16rocblas_bfloat16fPKfPKPS0_EviT3_lT4_lT_li.has_indirect_call, 0
	.section	.AMDGPU.csdata,"",@progbits
; Kernel info:
; codeLenInByte = 296
; TotalNumSgprs: 20
; NumVgprs: 5
; ScratchSize: 0
; MemoryBound: 0
; FloatMode: 240
; IeeeMode: 1
; LDSByteSize: 0 bytes/workgroup (compile time only)
; SGPRBlocks: 2
; VGPRBlocks: 1
; NumSGPRsForWavesPerEU: 20
; NumVGPRsForWavesPerEU: 5
; Occupancy: 10
; WaveLimiterHint : 1
; COMPUTE_PGM_RSRC2:SCRATCH_EN: 0
; COMPUTE_PGM_RSRC2:USER_SGPR: 6
; COMPUTE_PGM_RSRC2:TRAP_HANDLER: 0
; COMPUTE_PGM_RSRC2:TGID_X_EN: 1
; COMPUTE_PGM_RSRC2:TGID_Y_EN: 0
; COMPUTE_PGM_RSRC2:TGID_Z_EN: 1
; COMPUTE_PGM_RSRC2:TIDIG_COMP_CNT: 0
	.section	.text._ZL19rocblas_scal_kernelIlLi256E16rocblas_bfloat16ffPKPS0_EviT3_lT4_lT_li,"axG",@progbits,_ZL19rocblas_scal_kernelIlLi256E16rocblas_bfloat16ffPKPS0_EviT3_lT4_lT_li,comdat
	.globl	_ZL19rocblas_scal_kernelIlLi256E16rocblas_bfloat16ffPKPS0_EviT3_lT4_lT_li ; -- Begin function _ZL19rocblas_scal_kernelIlLi256E16rocblas_bfloat16ffPKPS0_EviT3_lT4_lT_li
	.p2align	8
	.type	_ZL19rocblas_scal_kernelIlLi256E16rocblas_bfloat16ffPKPS0_EviT3_lT4_lT_li,@function
_ZL19rocblas_scal_kernelIlLi256E16rocblas_bfloat16ffPKPS0_EviT3_lT4_lT_li: ; @_ZL19rocblas_scal_kernelIlLi256E16rocblas_bfloat16ffPKPS0_EviT3_lT4_lT_li
; %bb.0:
	s_load_dwordx2 s[0:1], s[4:5], 0x0
	v_lshl_or_b32 v0, s6, 8, v0
	s_mov_b32 s2, s7
	s_waitcnt lgkmcnt(0)
	v_cmp_neq_f32_e64 s[6:7], s1, 1.0
	v_cmp_gt_u32_e32 vcc, s0, v0
	s_and_b64 s[6:7], vcc, s[6:7]
	s_and_saveexec_b64 s[8:9], s[6:7]
	s_cbranch_execz .LBB123_6
; %bb.1:
	s_load_dwordx2 s[6:7], s[4:5], 0x20
	s_load_dwordx4 s[8:11], s[4:5], 0x10
	s_mov_b32 s3, 0
	s_lshl_b64 s[2:3], s[2:3], 3
	s_waitcnt lgkmcnt(0)
	v_mad_u64_u32 v[1:2], s[4:5], s6, v0, 0
	s_add_u32 s2, s8, s2
	s_addc_u32 s3, s9, s3
	s_load_dwordx2 s[2:3], s[2:3], 0x0
	v_mad_u64_u32 v[2:3], s[4:5], s7, v0, v[2:3]
	s_lshl_b64 s[4:5], s[10:11], 1
	s_waitcnt lgkmcnt(0)
	s_add_u32 s0, s2, s4
	v_lshlrev_b64 v[0:1], 1, v[1:2]
	s_addc_u32 s2, s3, s5
	v_mov_b32_e32 v2, s2
	v_add_co_u32_e32 v0, vcc, s0, v0
	v_addc_co_u32_e32 v1, vcc, v2, v1, vcc
	flat_load_ushort v2, v[0:1]
	s_mov_b32 s0, 0x7f800000
	s_waitcnt vmcnt(0) lgkmcnt(0)
	v_lshlrev_b32_e32 v2, 16, v2
	v_mul_f32_e32 v2, s1, v2
	v_and_b32_e32 v3, 0x7f800000, v2
	v_cmp_ne_u32_e32 vcc, s0, v3
                                        ; implicit-def: $vgpr3
	s_and_saveexec_b64 s[0:1], vcc
	s_xor_b64 s[0:1], exec, s[0:1]
; %bb.2:
	v_bfe_u32 v3, v2, 16, 1
	s_movk_i32 s2, 0x7fff
	v_add3_u32 v3, v2, v3, s2
                                        ; implicit-def: $vgpr2
; %bb.3:
	s_andn2_saveexec_b64 s[0:1], s[0:1]
; %bb.4:
	v_mov_b32_e32 v3, 0
	v_or_b32_e32 v4, 0x10000, v2
	v_cmp_eq_u32_sdwa vcc, v2, v3 src0_sel:WORD_0 src1_sel:DWORD
	v_cndmask_b32_e32 v3, v4, v2, vcc
; %bb.5:
	s_or_b64 exec, exec, s[0:1]
	flat_store_short_d16_hi v[0:1], v3
.LBB123_6:
	s_endpgm
	.section	.rodata,"a",@progbits
	.p2align	6, 0x0
	.amdhsa_kernel _ZL19rocblas_scal_kernelIlLi256E16rocblas_bfloat16ffPKPS0_EviT3_lT4_lT_li
		.amdhsa_group_segment_fixed_size 0
		.amdhsa_private_segment_fixed_size 0
		.amdhsa_kernarg_size 52
		.amdhsa_user_sgpr_count 6
		.amdhsa_user_sgpr_private_segment_buffer 1
		.amdhsa_user_sgpr_dispatch_ptr 0
		.amdhsa_user_sgpr_queue_ptr 0
		.amdhsa_user_sgpr_kernarg_segment_ptr 1
		.amdhsa_user_sgpr_dispatch_id 0
		.amdhsa_user_sgpr_flat_scratch_init 0
		.amdhsa_user_sgpr_private_segment_size 0
		.amdhsa_uses_dynamic_stack 0
		.amdhsa_system_sgpr_private_segment_wavefront_offset 0
		.amdhsa_system_sgpr_workgroup_id_x 1
		.amdhsa_system_sgpr_workgroup_id_y 0
		.amdhsa_system_sgpr_workgroup_id_z 1
		.amdhsa_system_sgpr_workgroup_info 0
		.amdhsa_system_vgpr_workitem_id 0
		.amdhsa_next_free_vgpr 5
		.amdhsa_next_free_sgpr 12
		.amdhsa_reserve_vcc 1
		.amdhsa_reserve_flat_scratch 0
		.amdhsa_float_round_mode_32 0
		.amdhsa_float_round_mode_16_64 0
		.amdhsa_float_denorm_mode_32 3
		.amdhsa_float_denorm_mode_16_64 3
		.amdhsa_dx10_clamp 1
		.amdhsa_ieee_mode 1
		.amdhsa_fp16_overflow 0
		.amdhsa_exception_fp_ieee_invalid_op 0
		.amdhsa_exception_fp_denorm_src 0
		.amdhsa_exception_fp_ieee_div_zero 0
		.amdhsa_exception_fp_ieee_overflow 0
		.amdhsa_exception_fp_ieee_underflow 0
		.amdhsa_exception_fp_ieee_inexact 0
		.amdhsa_exception_int_div_zero 0
	.end_amdhsa_kernel
	.section	.text._ZL19rocblas_scal_kernelIlLi256E16rocblas_bfloat16ffPKPS0_EviT3_lT4_lT_li,"axG",@progbits,_ZL19rocblas_scal_kernelIlLi256E16rocblas_bfloat16ffPKPS0_EviT3_lT4_lT_li,comdat
.Lfunc_end123:
	.size	_ZL19rocblas_scal_kernelIlLi256E16rocblas_bfloat16ffPKPS0_EviT3_lT4_lT_li, .Lfunc_end123-_ZL19rocblas_scal_kernelIlLi256E16rocblas_bfloat16ffPKPS0_EviT3_lT4_lT_li
                                        ; -- End function
	.set _ZL19rocblas_scal_kernelIlLi256E16rocblas_bfloat16ffPKPS0_EviT3_lT4_lT_li.num_vgpr, 5
	.set _ZL19rocblas_scal_kernelIlLi256E16rocblas_bfloat16ffPKPS0_EviT3_lT4_lT_li.num_agpr, 0
	.set _ZL19rocblas_scal_kernelIlLi256E16rocblas_bfloat16ffPKPS0_EviT3_lT4_lT_li.numbered_sgpr, 12
	.set _ZL19rocblas_scal_kernelIlLi256E16rocblas_bfloat16ffPKPS0_EviT3_lT4_lT_li.num_named_barrier, 0
	.set _ZL19rocblas_scal_kernelIlLi256E16rocblas_bfloat16ffPKPS0_EviT3_lT4_lT_li.private_seg_size, 0
	.set _ZL19rocblas_scal_kernelIlLi256E16rocblas_bfloat16ffPKPS0_EviT3_lT4_lT_li.uses_vcc, 1
	.set _ZL19rocblas_scal_kernelIlLi256E16rocblas_bfloat16ffPKPS0_EviT3_lT4_lT_li.uses_flat_scratch, 0
	.set _ZL19rocblas_scal_kernelIlLi256E16rocblas_bfloat16ffPKPS0_EviT3_lT4_lT_li.has_dyn_sized_stack, 0
	.set _ZL19rocblas_scal_kernelIlLi256E16rocblas_bfloat16ffPKPS0_EviT3_lT4_lT_li.has_recursion, 0
	.set _ZL19rocblas_scal_kernelIlLi256E16rocblas_bfloat16ffPKPS0_EviT3_lT4_lT_li.has_indirect_call, 0
	.section	.AMDGPU.csdata,"",@progbits
; Kernel info:
; codeLenInByte = 256
; TotalNumSgprs: 16
; NumVgprs: 5
; ScratchSize: 0
; MemoryBound: 0
; FloatMode: 240
; IeeeMode: 1
; LDSByteSize: 0 bytes/workgroup (compile time only)
; SGPRBlocks: 1
; VGPRBlocks: 1
; NumSGPRsForWavesPerEU: 16
; NumVGPRsForWavesPerEU: 5
; Occupancy: 10
; WaveLimiterHint : 1
; COMPUTE_PGM_RSRC2:SCRATCH_EN: 0
; COMPUTE_PGM_RSRC2:USER_SGPR: 6
; COMPUTE_PGM_RSRC2:TRAP_HANDLER: 0
; COMPUTE_PGM_RSRC2:TGID_X_EN: 1
; COMPUTE_PGM_RSRC2:TGID_Y_EN: 0
; COMPUTE_PGM_RSRC2:TGID_Z_EN: 1
; COMPUTE_PGM_RSRC2:TIDIG_COMP_CNT: 0
	.section	.text._ZL22rocblas_sscal_2_kernelILi256EddPKdPdEviT2_lT3_lli,"axG",@progbits,_ZL22rocblas_sscal_2_kernelILi256EddPKdPdEviT2_lT3_lli,comdat
	.globl	_ZL22rocblas_sscal_2_kernelILi256EddPKdPdEviT2_lT3_lli ; -- Begin function _ZL22rocblas_sscal_2_kernelILi256EddPKdPdEviT2_lT3_lli
	.p2align	8
	.type	_ZL22rocblas_sscal_2_kernelILi256EddPKdPdEviT2_lT3_lli,@function
_ZL22rocblas_sscal_2_kernelILi256EddPKdPdEviT2_lT3_lli: ; @_ZL22rocblas_sscal_2_kernelILi256EddPKdPdEviT2_lT3_lli
; %bb.0:
	s_load_dwordx4 s[0:3], s[4:5], 0x8
	s_waitcnt lgkmcnt(0)
	s_mul_i32 s3, s3, s7
	s_mul_hi_u32 s8, s2, s7
	s_add_i32 s3, s8, s3
	s_mul_i32 s2, s2, s7
	s_lshl_b64 s[2:3], s[2:3], 3
	s_add_u32 s0, s0, s2
	s_addc_u32 s1, s1, s3
	s_load_dwordx2 s[0:1], s[0:1], 0x0
	s_waitcnt lgkmcnt(0)
	v_cmp_eq_f64_e64 s[2:3], s[0:1], 1.0
	s_and_b64 vcc, exec, s[2:3]
	s_cbranch_vccnz .LBB124_5
; %bb.1:
	s_load_dwordx4 s[12:15], s[4:5], 0x20
	s_load_dwordx2 s[2:3], s[4:5], 0x18
	s_load_dword s8, s[4:5], 0x0
	v_lshlrev_b32_e32 v0, 1, v0
	v_lshl_or_b32 v0, s6, 9, v0
	s_waitcnt lgkmcnt(0)
	s_mul_i32 s4, s15, s7
	s_mul_hi_u32 s5, s14, s7
	s_add_i32 s5, s5, s4
	s_mul_i32 s4, s14, s7
	s_lshl_b64 s[4:5], s[4:5], 3
	s_add_u32 s4, s2, s4
	s_addc_u32 s5, s3, s5
	s_lshl_b64 s[2:3], s[12:13], 3
	s_add_u32 s4, s4, s2
	v_or_b32_e32 v1, 1, v0
	s_addc_u32 s5, s5, s3
	v_cmp_gt_u32_e32 vcc, s8, v1
	s_and_saveexec_b64 s[2:3], vcc
	s_cbranch_execz .LBB124_3
; %bb.2:
	v_mov_b32_e32 v1, 0
	v_lshlrev_b64 v[1:2], 3, v[0:1]
	v_mov_b32_e32 v3, s5
	v_add_co_u32_e32 v5, vcc, s4, v1
	v_addc_co_u32_e32 v6, vcc, v3, v2, vcc
	global_load_dwordx4 v[1:4], v[5:6], off
	s_waitcnt vmcnt(0)
	v_mul_f64 v[1:2], s[0:1], v[1:2]
	v_mul_f64 v[3:4], s[0:1], v[3:4]
	global_store_dwordx4 v[5:6], v[1:4], off
.LBB124_3:
	s_or_b64 exec, exec, s[2:3]
	s_bitcmp1_b32 s8, 0
	s_cselect_b64 s[2:3], -1, 0
	s_add_i32 s8, s8, -1
	v_cmp_eq_u32_e32 vcc, s8, v0
	s_and_b64 s[2:3], s[2:3], vcc
	s_and_saveexec_b64 s[6:7], s[2:3]
	s_cbranch_execz .LBB124_5
; %bb.4:
	v_mov_b32_e32 v1, 0
	v_lshlrev_b64 v[0:1], 3, v[0:1]
	v_mov_b32_e32 v2, s5
	v_add_co_u32_e32 v0, vcc, s4, v0
	v_addc_co_u32_e32 v1, vcc, v2, v1, vcc
	global_load_dwordx2 v[2:3], v[0:1], off
	s_waitcnt vmcnt(0)
	v_mul_f64 v[2:3], s[0:1], v[2:3]
	global_store_dwordx2 v[0:1], v[2:3], off
.LBB124_5:
	s_endpgm
	.section	.rodata,"a",@progbits
	.p2align	6, 0x0
	.amdhsa_kernel _ZL22rocblas_sscal_2_kernelILi256EddPKdPdEviT2_lT3_lli
		.amdhsa_group_segment_fixed_size 0
		.amdhsa_private_segment_fixed_size 0
		.amdhsa_kernarg_size 52
		.amdhsa_user_sgpr_count 6
		.amdhsa_user_sgpr_private_segment_buffer 1
		.amdhsa_user_sgpr_dispatch_ptr 0
		.amdhsa_user_sgpr_queue_ptr 0
		.amdhsa_user_sgpr_kernarg_segment_ptr 1
		.amdhsa_user_sgpr_dispatch_id 0
		.amdhsa_user_sgpr_flat_scratch_init 0
		.amdhsa_user_sgpr_private_segment_size 0
		.amdhsa_uses_dynamic_stack 0
		.amdhsa_system_sgpr_private_segment_wavefront_offset 0
		.amdhsa_system_sgpr_workgroup_id_x 1
		.amdhsa_system_sgpr_workgroup_id_y 0
		.amdhsa_system_sgpr_workgroup_id_z 1
		.amdhsa_system_sgpr_workgroup_info 0
		.amdhsa_system_vgpr_workitem_id 0
		.amdhsa_next_free_vgpr 7
		.amdhsa_next_free_sgpr 16
		.amdhsa_reserve_vcc 1
		.amdhsa_reserve_flat_scratch 0
		.amdhsa_float_round_mode_32 0
		.amdhsa_float_round_mode_16_64 0
		.amdhsa_float_denorm_mode_32 3
		.amdhsa_float_denorm_mode_16_64 3
		.amdhsa_dx10_clamp 1
		.amdhsa_ieee_mode 1
		.amdhsa_fp16_overflow 0
		.amdhsa_exception_fp_ieee_invalid_op 0
		.amdhsa_exception_fp_denorm_src 0
		.amdhsa_exception_fp_ieee_div_zero 0
		.amdhsa_exception_fp_ieee_overflow 0
		.amdhsa_exception_fp_ieee_underflow 0
		.amdhsa_exception_fp_ieee_inexact 0
		.amdhsa_exception_int_div_zero 0
	.end_amdhsa_kernel
	.section	.text._ZL22rocblas_sscal_2_kernelILi256EddPKdPdEviT2_lT3_lli,"axG",@progbits,_ZL22rocblas_sscal_2_kernelILi256EddPKdPdEviT2_lT3_lli,comdat
.Lfunc_end124:
	.size	_ZL22rocblas_sscal_2_kernelILi256EddPKdPdEviT2_lT3_lli, .Lfunc_end124-_ZL22rocblas_sscal_2_kernelILi256EddPKdPdEviT2_lT3_lli
                                        ; -- End function
	.set _ZL22rocblas_sscal_2_kernelILi256EddPKdPdEviT2_lT3_lli.num_vgpr, 7
	.set _ZL22rocblas_sscal_2_kernelILi256EddPKdPdEviT2_lT3_lli.num_agpr, 0
	.set _ZL22rocblas_sscal_2_kernelILi256EddPKdPdEviT2_lT3_lli.numbered_sgpr, 16
	.set _ZL22rocblas_sscal_2_kernelILi256EddPKdPdEviT2_lT3_lli.num_named_barrier, 0
	.set _ZL22rocblas_sscal_2_kernelILi256EddPKdPdEviT2_lT3_lli.private_seg_size, 0
	.set _ZL22rocblas_sscal_2_kernelILi256EddPKdPdEviT2_lT3_lli.uses_vcc, 1
	.set _ZL22rocblas_sscal_2_kernelILi256EddPKdPdEviT2_lT3_lli.uses_flat_scratch, 0
	.set _ZL22rocblas_sscal_2_kernelILi256EddPKdPdEviT2_lT3_lli.has_dyn_sized_stack, 0
	.set _ZL22rocblas_sscal_2_kernelILi256EddPKdPdEviT2_lT3_lli.has_recursion, 0
	.set _ZL22rocblas_sscal_2_kernelILi256EddPKdPdEviT2_lT3_lli.has_indirect_call, 0
	.section	.AMDGPU.csdata,"",@progbits
; Kernel info:
; codeLenInByte = 312
; TotalNumSgprs: 20
; NumVgprs: 7
; ScratchSize: 0
; MemoryBound: 0
; FloatMode: 240
; IeeeMode: 1
; LDSByteSize: 0 bytes/workgroup (compile time only)
; SGPRBlocks: 2
; VGPRBlocks: 1
; NumSGPRsForWavesPerEU: 20
; NumVGPRsForWavesPerEU: 7
; Occupancy: 10
; WaveLimiterHint : 0
; COMPUTE_PGM_RSRC2:SCRATCH_EN: 0
; COMPUTE_PGM_RSRC2:USER_SGPR: 6
; COMPUTE_PGM_RSRC2:TRAP_HANDLER: 0
; COMPUTE_PGM_RSRC2:TGID_X_EN: 1
; COMPUTE_PGM_RSRC2:TGID_Y_EN: 0
; COMPUTE_PGM_RSRC2:TGID_Z_EN: 1
; COMPUTE_PGM_RSRC2:TIDIG_COMP_CNT: 0
	.section	.text._ZL22rocblas_sscal_2_kernelILi256EdddPdEviT2_lT3_lli,"axG",@progbits,_ZL22rocblas_sscal_2_kernelILi256EdddPdEviT2_lT3_lli,comdat
	.globl	_ZL22rocblas_sscal_2_kernelILi256EdddPdEviT2_lT3_lli ; -- Begin function _ZL22rocblas_sscal_2_kernelILi256EdddPdEviT2_lT3_lli
	.p2align	8
	.type	_ZL22rocblas_sscal_2_kernelILi256EdddPdEviT2_lT3_lli,@function
_ZL22rocblas_sscal_2_kernelILi256EdddPdEviT2_lT3_lli: ; @_ZL22rocblas_sscal_2_kernelILi256EdddPdEviT2_lT3_lli
; %bb.0:
	s_load_dwordx2 s[0:1], s[4:5], 0x8
	s_waitcnt lgkmcnt(0)
	v_cmp_eq_f64_e64 s[2:3], s[0:1], 1.0
	s_and_b64 vcc, exec, s[2:3]
	s_cbranch_vccnz .LBB125_5
; %bb.1:
	s_load_dwordx4 s[12:15], s[4:5], 0x20
	s_load_dwordx2 s[2:3], s[4:5], 0x18
	s_load_dword s8, s[4:5], 0x0
	v_lshlrev_b32_e32 v0, 1, v0
	v_lshl_or_b32 v0, s6, 9, v0
	s_waitcnt lgkmcnt(0)
	s_mul_i32 s4, s15, s7
	s_mul_hi_u32 s5, s14, s7
	s_add_i32 s5, s5, s4
	s_mul_i32 s4, s14, s7
	s_lshl_b64 s[4:5], s[4:5], 3
	s_add_u32 s4, s2, s4
	s_addc_u32 s5, s3, s5
	s_lshl_b64 s[2:3], s[12:13], 3
	s_add_u32 s4, s4, s2
	v_or_b32_e32 v1, 1, v0
	s_addc_u32 s5, s5, s3
	v_cmp_gt_u32_e32 vcc, s8, v1
	s_and_saveexec_b64 s[2:3], vcc
	s_cbranch_execz .LBB125_3
; %bb.2:
	v_mov_b32_e32 v1, 0
	v_lshlrev_b64 v[1:2], 3, v[0:1]
	v_mov_b32_e32 v3, s5
	v_add_co_u32_e32 v5, vcc, s4, v1
	v_addc_co_u32_e32 v6, vcc, v3, v2, vcc
	global_load_dwordx4 v[1:4], v[5:6], off
	s_waitcnt vmcnt(0)
	v_mul_f64 v[1:2], s[0:1], v[1:2]
	v_mul_f64 v[3:4], s[0:1], v[3:4]
	global_store_dwordx4 v[5:6], v[1:4], off
.LBB125_3:
	s_or_b64 exec, exec, s[2:3]
	s_bitcmp1_b32 s8, 0
	s_cselect_b64 s[2:3], -1, 0
	s_add_i32 s8, s8, -1
	v_cmp_eq_u32_e32 vcc, s8, v0
	s_and_b64 s[2:3], s[2:3], vcc
	s_and_saveexec_b64 s[6:7], s[2:3]
	s_cbranch_execz .LBB125_5
; %bb.4:
	v_mov_b32_e32 v1, 0
	v_lshlrev_b64 v[0:1], 3, v[0:1]
	v_mov_b32_e32 v2, s5
	v_add_co_u32_e32 v0, vcc, s4, v0
	v_addc_co_u32_e32 v1, vcc, v2, v1, vcc
	global_load_dwordx2 v[2:3], v[0:1], off
	s_waitcnt vmcnt(0)
	v_mul_f64 v[2:3], s[0:1], v[2:3]
	global_store_dwordx2 v[0:1], v[2:3], off
.LBB125_5:
	s_endpgm
	.section	.rodata,"a",@progbits
	.p2align	6, 0x0
	.amdhsa_kernel _ZL22rocblas_sscal_2_kernelILi256EdddPdEviT2_lT3_lli
		.amdhsa_group_segment_fixed_size 0
		.amdhsa_private_segment_fixed_size 0
		.amdhsa_kernarg_size 52
		.amdhsa_user_sgpr_count 6
		.amdhsa_user_sgpr_private_segment_buffer 1
		.amdhsa_user_sgpr_dispatch_ptr 0
		.amdhsa_user_sgpr_queue_ptr 0
		.amdhsa_user_sgpr_kernarg_segment_ptr 1
		.amdhsa_user_sgpr_dispatch_id 0
		.amdhsa_user_sgpr_flat_scratch_init 0
		.amdhsa_user_sgpr_private_segment_size 0
		.amdhsa_uses_dynamic_stack 0
		.amdhsa_system_sgpr_private_segment_wavefront_offset 0
		.amdhsa_system_sgpr_workgroup_id_x 1
		.amdhsa_system_sgpr_workgroup_id_y 0
		.amdhsa_system_sgpr_workgroup_id_z 1
		.amdhsa_system_sgpr_workgroup_info 0
		.amdhsa_system_vgpr_workitem_id 0
		.amdhsa_next_free_vgpr 7
		.amdhsa_next_free_sgpr 16
		.amdhsa_reserve_vcc 1
		.amdhsa_reserve_flat_scratch 0
		.amdhsa_float_round_mode_32 0
		.amdhsa_float_round_mode_16_64 0
		.amdhsa_float_denorm_mode_32 3
		.amdhsa_float_denorm_mode_16_64 3
		.amdhsa_dx10_clamp 1
		.amdhsa_ieee_mode 1
		.amdhsa_fp16_overflow 0
		.amdhsa_exception_fp_ieee_invalid_op 0
		.amdhsa_exception_fp_denorm_src 0
		.amdhsa_exception_fp_ieee_div_zero 0
		.amdhsa_exception_fp_ieee_overflow 0
		.amdhsa_exception_fp_ieee_underflow 0
		.amdhsa_exception_fp_ieee_inexact 0
		.amdhsa_exception_int_div_zero 0
	.end_amdhsa_kernel
	.section	.text._ZL22rocblas_sscal_2_kernelILi256EdddPdEviT2_lT3_lli,"axG",@progbits,_ZL22rocblas_sscal_2_kernelILi256EdddPdEviT2_lT3_lli,comdat
.Lfunc_end125:
	.size	_ZL22rocblas_sscal_2_kernelILi256EdddPdEviT2_lT3_lli, .Lfunc_end125-_ZL22rocblas_sscal_2_kernelILi256EdddPdEviT2_lT3_lli
                                        ; -- End function
	.set _ZL22rocblas_sscal_2_kernelILi256EdddPdEviT2_lT3_lli.num_vgpr, 7
	.set _ZL22rocblas_sscal_2_kernelILi256EdddPdEviT2_lT3_lli.num_agpr, 0
	.set _ZL22rocblas_sscal_2_kernelILi256EdddPdEviT2_lT3_lli.numbered_sgpr, 16
	.set _ZL22rocblas_sscal_2_kernelILi256EdddPdEviT2_lT3_lli.num_named_barrier, 0
	.set _ZL22rocblas_sscal_2_kernelILi256EdddPdEviT2_lT3_lli.private_seg_size, 0
	.set _ZL22rocblas_sscal_2_kernelILi256EdddPdEviT2_lT3_lli.uses_vcc, 1
	.set _ZL22rocblas_sscal_2_kernelILi256EdddPdEviT2_lT3_lli.uses_flat_scratch, 0
	.set _ZL22rocblas_sscal_2_kernelILi256EdddPdEviT2_lT3_lli.has_dyn_sized_stack, 0
	.set _ZL22rocblas_sscal_2_kernelILi256EdddPdEviT2_lT3_lli.has_recursion, 0
	.set _ZL22rocblas_sscal_2_kernelILi256EdddPdEviT2_lT3_lli.has_indirect_call, 0
	.section	.AMDGPU.csdata,"",@progbits
; Kernel info:
; codeLenInByte = 272
; TotalNumSgprs: 20
; NumVgprs: 7
; ScratchSize: 0
; MemoryBound: 0
; FloatMode: 240
; IeeeMode: 1
; LDSByteSize: 0 bytes/workgroup (compile time only)
; SGPRBlocks: 2
; VGPRBlocks: 1
; NumSGPRsForWavesPerEU: 20
; NumVGPRsForWavesPerEU: 7
; Occupancy: 10
; WaveLimiterHint : 0
; COMPUTE_PGM_RSRC2:SCRATCH_EN: 0
; COMPUTE_PGM_RSRC2:USER_SGPR: 6
; COMPUTE_PGM_RSRC2:TRAP_HANDLER: 0
; COMPUTE_PGM_RSRC2:TGID_X_EN: 1
; COMPUTE_PGM_RSRC2:TGID_Y_EN: 0
; COMPUTE_PGM_RSRC2:TGID_Z_EN: 1
; COMPUTE_PGM_RSRC2:TIDIG_COMP_CNT: 0
	.section	.text._ZL19rocblas_scal_kernelIiLi256EddPKdPdEviT3_lT4_lT_li,"axG",@progbits,_ZL19rocblas_scal_kernelIiLi256EddPKdPdEviT3_lT4_lT_li,comdat
	.globl	_ZL19rocblas_scal_kernelIiLi256EddPKdPdEviT3_lT4_lT_li ; -- Begin function _ZL19rocblas_scal_kernelIiLi256EddPKdPdEviT3_lT4_lT_li
	.p2align	8
	.type	_ZL19rocblas_scal_kernelIiLi256EddPKdPdEviT3_lT4_lT_li,@function
_ZL19rocblas_scal_kernelIiLi256EddPKdPdEviT3_lT4_lT_li: ; @_ZL19rocblas_scal_kernelIiLi256EddPKdPdEviT3_lT4_lT_li
; %bb.0:
	s_load_dwordx8 s[8:15], s[4:5], 0x8
	v_lshl_or_b32 v0, s6, 8, v0
	s_waitcnt lgkmcnt(0)
	s_mul_i32 s0, s11, s7
	s_mul_hi_u32 s1, s10, s7
	s_add_i32 s1, s1, s0
	s_mul_i32 s0, s10, s7
	s_lshl_b64 s[0:1], s[0:1], 3
	s_add_u32 s0, s8, s0
	s_addc_u32 s1, s9, s1
	s_load_dwordx2 s[0:1], s[0:1], 0x0
	s_waitcnt lgkmcnt(0)
	v_cmp_neq_f64_e64 s[2:3], s[0:1], 1.0
	s_load_dword s8, s[4:5], 0x0
	s_waitcnt lgkmcnt(0)
	v_cmp_gt_u32_e32 vcc, s8, v0
	s_and_b64 s[2:3], vcc, s[2:3]
	s_and_saveexec_b64 s[8:9], s[2:3]
	s_cbranch_execz .LBB126_2
; %bb.1:
	s_load_dword s6, s[4:5], 0x28
	s_load_dwordx2 s[2:3], s[4:5], 0x30
	s_waitcnt lgkmcnt(0)
	s_ashr_i32 s8, s6, 31
	s_mul_i32 s3, s3, s7
	s_mul_hi_u32 s4, s2, s7
	s_add_i32 s3, s4, s3
	v_mad_u64_u32 v[1:2], s[4:5], s6, v0, 0
	s_mul_i32 s2, s2, s7
	s_lshl_b64 s[2:3], s[2:3], 3
	s_add_u32 s4, s12, s2
	s_addc_u32 s5, s13, s3
	v_mad_u64_u32 v[2:3], s[2:3], s8, v0, v[2:3]
	s_lshl_b64 s[2:3], s[14:15], 3
	s_add_u32 s2, s4, s2
	v_lshlrev_b64 v[0:1], 3, v[1:2]
	s_addc_u32 s3, s5, s3
	v_mov_b32_e32 v2, s3
	v_add_co_u32_e32 v0, vcc, s2, v0
	v_addc_co_u32_e32 v1, vcc, v2, v1, vcc
	global_load_dwordx2 v[2:3], v[0:1], off
	s_waitcnt vmcnt(0)
	v_mul_f64 v[2:3], s[0:1], v[2:3]
	global_store_dwordx2 v[0:1], v[2:3], off
.LBB126_2:
	s_endpgm
	.section	.rodata,"a",@progbits
	.p2align	6, 0x0
	.amdhsa_kernel _ZL19rocblas_scal_kernelIiLi256EddPKdPdEviT3_lT4_lT_li
		.amdhsa_group_segment_fixed_size 0
		.amdhsa_private_segment_fixed_size 0
		.amdhsa_kernarg_size 60
		.amdhsa_user_sgpr_count 6
		.amdhsa_user_sgpr_private_segment_buffer 1
		.amdhsa_user_sgpr_dispatch_ptr 0
		.amdhsa_user_sgpr_queue_ptr 0
		.amdhsa_user_sgpr_kernarg_segment_ptr 1
		.amdhsa_user_sgpr_dispatch_id 0
		.amdhsa_user_sgpr_flat_scratch_init 0
		.amdhsa_user_sgpr_private_segment_size 0
		.amdhsa_uses_dynamic_stack 0
		.amdhsa_system_sgpr_private_segment_wavefront_offset 0
		.amdhsa_system_sgpr_workgroup_id_x 1
		.amdhsa_system_sgpr_workgroup_id_y 0
		.amdhsa_system_sgpr_workgroup_id_z 1
		.amdhsa_system_sgpr_workgroup_info 0
		.amdhsa_system_vgpr_workitem_id 0
		.amdhsa_next_free_vgpr 4
		.amdhsa_next_free_sgpr 16
		.amdhsa_reserve_vcc 1
		.amdhsa_reserve_flat_scratch 0
		.amdhsa_float_round_mode_32 0
		.amdhsa_float_round_mode_16_64 0
		.amdhsa_float_denorm_mode_32 3
		.amdhsa_float_denorm_mode_16_64 3
		.amdhsa_dx10_clamp 1
		.amdhsa_ieee_mode 1
		.amdhsa_fp16_overflow 0
		.amdhsa_exception_fp_ieee_invalid_op 0
		.amdhsa_exception_fp_denorm_src 0
		.amdhsa_exception_fp_ieee_div_zero 0
		.amdhsa_exception_fp_ieee_overflow 0
		.amdhsa_exception_fp_ieee_underflow 0
		.amdhsa_exception_fp_ieee_inexact 0
		.amdhsa_exception_int_div_zero 0
	.end_amdhsa_kernel
	.section	.text._ZL19rocblas_scal_kernelIiLi256EddPKdPdEviT3_lT4_lT_li,"axG",@progbits,_ZL19rocblas_scal_kernelIiLi256EddPKdPdEviT3_lT4_lT_li,comdat
.Lfunc_end126:
	.size	_ZL19rocblas_scal_kernelIiLi256EddPKdPdEviT3_lT4_lT_li, .Lfunc_end126-_ZL19rocblas_scal_kernelIiLi256EddPKdPdEviT3_lT4_lT_li
                                        ; -- End function
	.set _ZL19rocblas_scal_kernelIiLi256EddPKdPdEviT3_lT4_lT_li.num_vgpr, 4
	.set _ZL19rocblas_scal_kernelIiLi256EddPKdPdEviT3_lT4_lT_li.num_agpr, 0
	.set _ZL19rocblas_scal_kernelIiLi256EddPKdPdEviT3_lT4_lT_li.numbered_sgpr, 16
	.set _ZL19rocblas_scal_kernelIiLi256EddPKdPdEviT3_lT4_lT_li.num_named_barrier, 0
	.set _ZL19rocblas_scal_kernelIiLi256EddPKdPdEviT3_lT4_lT_li.private_seg_size, 0
	.set _ZL19rocblas_scal_kernelIiLi256EddPKdPdEviT3_lT4_lT_li.uses_vcc, 1
	.set _ZL19rocblas_scal_kernelIiLi256EddPKdPdEviT3_lT4_lT_li.uses_flat_scratch, 0
	.set _ZL19rocblas_scal_kernelIiLi256EddPKdPdEviT3_lT4_lT_li.has_dyn_sized_stack, 0
	.set _ZL19rocblas_scal_kernelIiLi256EddPKdPdEviT3_lT4_lT_li.has_recursion, 0
	.set _ZL19rocblas_scal_kernelIiLi256EddPKdPdEviT3_lT4_lT_li.has_indirect_call, 0
	.section	.AMDGPU.csdata,"",@progbits
; Kernel info:
; codeLenInByte = 228
; TotalNumSgprs: 20
; NumVgprs: 4
; ScratchSize: 0
; MemoryBound: 0
; FloatMode: 240
; IeeeMode: 1
; LDSByteSize: 0 bytes/workgroup (compile time only)
; SGPRBlocks: 2
; VGPRBlocks: 0
; NumSGPRsForWavesPerEU: 20
; NumVGPRsForWavesPerEU: 4
; Occupancy: 10
; WaveLimiterHint : 0
; COMPUTE_PGM_RSRC2:SCRATCH_EN: 0
; COMPUTE_PGM_RSRC2:USER_SGPR: 6
; COMPUTE_PGM_RSRC2:TRAP_HANDLER: 0
; COMPUTE_PGM_RSRC2:TGID_X_EN: 1
; COMPUTE_PGM_RSRC2:TGID_Y_EN: 0
; COMPUTE_PGM_RSRC2:TGID_Z_EN: 1
; COMPUTE_PGM_RSRC2:TIDIG_COMP_CNT: 0
	.section	.text._ZL19rocblas_scal_kernelIiLi256EdddPdEviT3_lT4_lT_li,"axG",@progbits,_ZL19rocblas_scal_kernelIiLi256EdddPdEviT3_lT4_lT_li,comdat
	.globl	_ZL19rocblas_scal_kernelIiLi256EdddPdEviT3_lT4_lT_li ; -- Begin function _ZL19rocblas_scal_kernelIiLi256EdddPdEviT3_lT4_lT_li
	.p2align	8
	.type	_ZL19rocblas_scal_kernelIiLi256EdddPdEviT3_lT4_lT_li,@function
_ZL19rocblas_scal_kernelIiLi256EdddPdEviT3_lT4_lT_li: ; @_ZL19rocblas_scal_kernelIiLi256EdddPdEviT3_lT4_lT_li
; %bb.0:
	s_load_dwordx2 s[0:1], s[4:5], 0x8
	s_load_dword s8, s[4:5], 0x0
	v_lshl_or_b32 v0, s6, 8, v0
	s_waitcnt lgkmcnt(0)
	v_cmp_neq_f64_e64 s[2:3], s[0:1], 1.0
	v_cmp_gt_u32_e32 vcc, s8, v0
	s_and_b64 s[2:3], vcc, s[2:3]
	s_and_saveexec_b64 s[8:9], s[2:3]
	s_cbranch_execz .LBB127_2
; %bb.1:
	s_load_dword s6, s[4:5], 0x28
	s_load_dwordx2 s[2:3], s[4:5], 0x30
	s_load_dwordx4 s[8:11], s[4:5], 0x18
	s_waitcnt lgkmcnt(0)
	s_ashr_i32 s12, s6, 31
	s_mul_i32 s3, s3, s7
	s_mul_hi_u32 s4, s2, s7
	s_add_i32 s3, s4, s3
	v_mad_u64_u32 v[1:2], s[4:5], s6, v0, 0
	s_mul_i32 s2, s2, s7
	s_lshl_b64 s[2:3], s[2:3], 3
	s_add_u32 s4, s8, s2
	s_addc_u32 s5, s9, s3
	v_mad_u64_u32 v[2:3], s[2:3], s12, v0, v[2:3]
	s_lshl_b64 s[2:3], s[10:11], 3
	s_add_u32 s2, s4, s2
	v_lshlrev_b64 v[0:1], 3, v[1:2]
	s_addc_u32 s3, s5, s3
	v_mov_b32_e32 v2, s3
	v_add_co_u32_e32 v0, vcc, s2, v0
	v_addc_co_u32_e32 v1, vcc, v2, v1, vcc
	global_load_dwordx2 v[2:3], v[0:1], off
	s_waitcnt vmcnt(0)
	v_mul_f64 v[2:3], s[0:1], v[2:3]
	global_store_dwordx2 v[0:1], v[2:3], off
.LBB127_2:
	s_endpgm
	.section	.rodata,"a",@progbits
	.p2align	6, 0x0
	.amdhsa_kernel _ZL19rocblas_scal_kernelIiLi256EdddPdEviT3_lT4_lT_li
		.amdhsa_group_segment_fixed_size 0
		.amdhsa_private_segment_fixed_size 0
		.amdhsa_kernarg_size 60
		.amdhsa_user_sgpr_count 6
		.amdhsa_user_sgpr_private_segment_buffer 1
		.amdhsa_user_sgpr_dispatch_ptr 0
		.amdhsa_user_sgpr_queue_ptr 0
		.amdhsa_user_sgpr_kernarg_segment_ptr 1
		.amdhsa_user_sgpr_dispatch_id 0
		.amdhsa_user_sgpr_flat_scratch_init 0
		.amdhsa_user_sgpr_private_segment_size 0
		.amdhsa_uses_dynamic_stack 0
		.amdhsa_system_sgpr_private_segment_wavefront_offset 0
		.amdhsa_system_sgpr_workgroup_id_x 1
		.amdhsa_system_sgpr_workgroup_id_y 0
		.amdhsa_system_sgpr_workgroup_id_z 1
		.amdhsa_system_sgpr_workgroup_info 0
		.amdhsa_system_vgpr_workitem_id 0
		.amdhsa_next_free_vgpr 4
		.amdhsa_next_free_sgpr 13
		.amdhsa_reserve_vcc 1
		.amdhsa_reserve_flat_scratch 0
		.amdhsa_float_round_mode_32 0
		.amdhsa_float_round_mode_16_64 0
		.amdhsa_float_denorm_mode_32 3
		.amdhsa_float_denorm_mode_16_64 3
		.amdhsa_dx10_clamp 1
		.amdhsa_ieee_mode 1
		.amdhsa_fp16_overflow 0
		.amdhsa_exception_fp_ieee_invalid_op 0
		.amdhsa_exception_fp_denorm_src 0
		.amdhsa_exception_fp_ieee_div_zero 0
		.amdhsa_exception_fp_ieee_overflow 0
		.amdhsa_exception_fp_ieee_underflow 0
		.amdhsa_exception_fp_ieee_inexact 0
		.amdhsa_exception_int_div_zero 0
	.end_amdhsa_kernel
	.section	.text._ZL19rocblas_scal_kernelIiLi256EdddPdEviT3_lT4_lT_li,"axG",@progbits,_ZL19rocblas_scal_kernelIiLi256EdddPdEviT3_lT4_lT_li,comdat
.Lfunc_end127:
	.size	_ZL19rocblas_scal_kernelIiLi256EdddPdEviT3_lT4_lT_li, .Lfunc_end127-_ZL19rocblas_scal_kernelIiLi256EdddPdEviT3_lT4_lT_li
                                        ; -- End function
	.set _ZL19rocblas_scal_kernelIiLi256EdddPdEviT3_lT4_lT_li.num_vgpr, 4
	.set _ZL19rocblas_scal_kernelIiLi256EdddPdEviT3_lT4_lT_li.num_agpr, 0
	.set _ZL19rocblas_scal_kernelIiLi256EdddPdEviT3_lT4_lT_li.numbered_sgpr, 13
	.set _ZL19rocblas_scal_kernelIiLi256EdddPdEviT3_lT4_lT_li.num_named_barrier, 0
	.set _ZL19rocblas_scal_kernelIiLi256EdddPdEviT3_lT4_lT_li.private_seg_size, 0
	.set _ZL19rocblas_scal_kernelIiLi256EdddPdEviT3_lT4_lT_li.uses_vcc, 1
	.set _ZL19rocblas_scal_kernelIiLi256EdddPdEviT3_lT4_lT_li.uses_flat_scratch, 0
	.set _ZL19rocblas_scal_kernelIiLi256EdddPdEviT3_lT4_lT_li.has_dyn_sized_stack, 0
	.set _ZL19rocblas_scal_kernelIiLi256EdddPdEviT3_lT4_lT_li.has_recursion, 0
	.set _ZL19rocblas_scal_kernelIiLi256EdddPdEviT3_lT4_lT_li.has_indirect_call, 0
	.section	.AMDGPU.csdata,"",@progbits
; Kernel info:
; codeLenInByte = 192
; TotalNumSgprs: 17
; NumVgprs: 4
; ScratchSize: 0
; MemoryBound: 0
; FloatMode: 240
; IeeeMode: 1
; LDSByteSize: 0 bytes/workgroup (compile time only)
; SGPRBlocks: 2
; VGPRBlocks: 0
; NumSGPRsForWavesPerEU: 17
; NumVGPRsForWavesPerEU: 4
; Occupancy: 10
; WaveLimiterHint : 0
; COMPUTE_PGM_RSRC2:SCRATCH_EN: 0
; COMPUTE_PGM_RSRC2:USER_SGPR: 6
; COMPUTE_PGM_RSRC2:TRAP_HANDLER: 0
; COMPUTE_PGM_RSRC2:TGID_X_EN: 1
; COMPUTE_PGM_RSRC2:TGID_Y_EN: 0
; COMPUTE_PGM_RSRC2:TGID_Z_EN: 1
; COMPUTE_PGM_RSRC2:TIDIG_COMP_CNT: 0
	.section	.text._ZL19rocblas_scal_kernelIlLi256EddPKdPdEviT3_lT4_lT_li,"axG",@progbits,_ZL19rocblas_scal_kernelIlLi256EddPKdPdEviT3_lT4_lT_li,comdat
	.globl	_ZL19rocblas_scal_kernelIlLi256EddPKdPdEviT3_lT4_lT_li ; -- Begin function _ZL19rocblas_scal_kernelIlLi256EddPKdPdEviT3_lT4_lT_li
	.p2align	8
	.type	_ZL19rocblas_scal_kernelIlLi256EddPKdPdEviT3_lT4_lT_li,@function
_ZL19rocblas_scal_kernelIlLi256EddPKdPdEviT3_lT4_lT_li: ; @_ZL19rocblas_scal_kernelIlLi256EddPKdPdEviT3_lT4_lT_li
; %bb.0:
	s_load_dwordx8 s[8:15], s[4:5], 0x8
	v_lshl_or_b32 v0, s6, 8, v0
	s_waitcnt lgkmcnt(0)
	s_mul_i32 s0, s11, s7
	s_mul_hi_u32 s1, s10, s7
	s_add_i32 s1, s1, s0
	s_mul_i32 s0, s10, s7
	s_lshl_b64 s[0:1], s[0:1], 3
	s_add_u32 s0, s8, s0
	s_addc_u32 s1, s9, s1
	s_load_dwordx2 s[0:1], s[0:1], 0x0
	s_waitcnt lgkmcnt(0)
	v_cmp_neq_f64_e64 s[2:3], s[0:1], 1.0
	s_load_dword s8, s[4:5], 0x0
	s_waitcnt lgkmcnt(0)
	v_cmp_gt_u32_e32 vcc, s8, v0
	s_and_b64 s[2:3], vcc, s[2:3]
	s_and_saveexec_b64 s[8:9], s[2:3]
	s_cbranch_execz .LBB128_2
; %bb.1:
	s_load_dwordx4 s[8:11], s[4:5], 0x28
	s_waitcnt lgkmcnt(0)
	s_mul_i32 s3, s11, s7
	s_mul_hi_u32 s6, s10, s7
	v_mad_u64_u32 v[1:2], s[4:5], s8, v0, 0
	s_mul_i32 s2, s10, s7
	s_add_i32 s3, s6, s3
	s_lshl_b64 s[2:3], s[2:3], 3
	s_add_u32 s4, s12, s2
	s_addc_u32 s5, s13, s3
	v_mad_u64_u32 v[2:3], s[2:3], s9, v0, v[2:3]
	s_lshl_b64 s[2:3], s[14:15], 3
	s_add_u32 s2, s4, s2
	v_lshlrev_b64 v[0:1], 3, v[1:2]
	s_addc_u32 s3, s5, s3
	v_mov_b32_e32 v2, s3
	v_add_co_u32_e32 v0, vcc, s2, v0
	v_addc_co_u32_e32 v1, vcc, v2, v1, vcc
	global_load_dwordx2 v[2:3], v[0:1], off
	s_waitcnt vmcnt(0)
	v_mul_f64 v[2:3], s[0:1], v[2:3]
	global_store_dwordx2 v[0:1], v[2:3], off
.LBB128_2:
	s_endpgm
	.section	.rodata,"a",@progbits
	.p2align	6, 0x0
	.amdhsa_kernel _ZL19rocblas_scal_kernelIlLi256EddPKdPdEviT3_lT4_lT_li
		.amdhsa_group_segment_fixed_size 0
		.amdhsa_private_segment_fixed_size 0
		.amdhsa_kernarg_size 60
		.amdhsa_user_sgpr_count 6
		.amdhsa_user_sgpr_private_segment_buffer 1
		.amdhsa_user_sgpr_dispatch_ptr 0
		.amdhsa_user_sgpr_queue_ptr 0
		.amdhsa_user_sgpr_kernarg_segment_ptr 1
		.amdhsa_user_sgpr_dispatch_id 0
		.amdhsa_user_sgpr_flat_scratch_init 0
		.amdhsa_user_sgpr_private_segment_size 0
		.amdhsa_uses_dynamic_stack 0
		.amdhsa_system_sgpr_private_segment_wavefront_offset 0
		.amdhsa_system_sgpr_workgroup_id_x 1
		.amdhsa_system_sgpr_workgroup_id_y 0
		.amdhsa_system_sgpr_workgroup_id_z 1
		.amdhsa_system_sgpr_workgroup_info 0
		.amdhsa_system_vgpr_workitem_id 0
		.amdhsa_next_free_vgpr 4
		.amdhsa_next_free_sgpr 16
		.amdhsa_reserve_vcc 1
		.amdhsa_reserve_flat_scratch 0
		.amdhsa_float_round_mode_32 0
		.amdhsa_float_round_mode_16_64 0
		.amdhsa_float_denorm_mode_32 3
		.amdhsa_float_denorm_mode_16_64 3
		.amdhsa_dx10_clamp 1
		.amdhsa_ieee_mode 1
		.amdhsa_fp16_overflow 0
		.amdhsa_exception_fp_ieee_invalid_op 0
		.amdhsa_exception_fp_denorm_src 0
		.amdhsa_exception_fp_ieee_div_zero 0
		.amdhsa_exception_fp_ieee_overflow 0
		.amdhsa_exception_fp_ieee_underflow 0
		.amdhsa_exception_fp_ieee_inexact 0
		.amdhsa_exception_int_div_zero 0
	.end_amdhsa_kernel
	.section	.text._ZL19rocblas_scal_kernelIlLi256EddPKdPdEviT3_lT4_lT_li,"axG",@progbits,_ZL19rocblas_scal_kernelIlLi256EddPKdPdEviT3_lT4_lT_li,comdat
.Lfunc_end128:
	.size	_ZL19rocblas_scal_kernelIlLi256EddPKdPdEviT3_lT4_lT_li, .Lfunc_end128-_ZL19rocblas_scal_kernelIlLi256EddPKdPdEviT3_lT4_lT_li
                                        ; -- End function
	.set _ZL19rocblas_scal_kernelIlLi256EddPKdPdEviT3_lT4_lT_li.num_vgpr, 4
	.set _ZL19rocblas_scal_kernelIlLi256EddPKdPdEviT3_lT4_lT_li.num_agpr, 0
	.set _ZL19rocblas_scal_kernelIlLi256EddPKdPdEviT3_lT4_lT_li.numbered_sgpr, 16
	.set _ZL19rocblas_scal_kernelIlLi256EddPKdPdEviT3_lT4_lT_li.num_named_barrier, 0
	.set _ZL19rocblas_scal_kernelIlLi256EddPKdPdEviT3_lT4_lT_li.private_seg_size, 0
	.set _ZL19rocblas_scal_kernelIlLi256EddPKdPdEviT3_lT4_lT_li.uses_vcc, 1
	.set _ZL19rocblas_scal_kernelIlLi256EddPKdPdEviT3_lT4_lT_li.uses_flat_scratch, 0
	.set _ZL19rocblas_scal_kernelIlLi256EddPKdPdEviT3_lT4_lT_li.has_dyn_sized_stack, 0
	.set _ZL19rocblas_scal_kernelIlLi256EddPKdPdEviT3_lT4_lT_li.has_recursion, 0
	.set _ZL19rocblas_scal_kernelIlLi256EddPKdPdEviT3_lT4_lT_li.has_indirect_call, 0
	.section	.AMDGPU.csdata,"",@progbits
; Kernel info:
; codeLenInByte = 216
; TotalNumSgprs: 20
; NumVgprs: 4
; ScratchSize: 0
; MemoryBound: 0
; FloatMode: 240
; IeeeMode: 1
; LDSByteSize: 0 bytes/workgroup (compile time only)
; SGPRBlocks: 2
; VGPRBlocks: 0
; NumSGPRsForWavesPerEU: 20
; NumVGPRsForWavesPerEU: 4
; Occupancy: 10
; WaveLimiterHint : 0
; COMPUTE_PGM_RSRC2:SCRATCH_EN: 0
; COMPUTE_PGM_RSRC2:USER_SGPR: 6
; COMPUTE_PGM_RSRC2:TRAP_HANDLER: 0
; COMPUTE_PGM_RSRC2:TGID_X_EN: 1
; COMPUTE_PGM_RSRC2:TGID_Y_EN: 0
; COMPUTE_PGM_RSRC2:TGID_Z_EN: 1
; COMPUTE_PGM_RSRC2:TIDIG_COMP_CNT: 0
	.section	.text._ZL19rocblas_scal_kernelIlLi256EdddPdEviT3_lT4_lT_li,"axG",@progbits,_ZL19rocblas_scal_kernelIlLi256EdddPdEviT3_lT4_lT_li,comdat
	.globl	_ZL19rocblas_scal_kernelIlLi256EdddPdEviT3_lT4_lT_li ; -- Begin function _ZL19rocblas_scal_kernelIlLi256EdddPdEviT3_lT4_lT_li
	.p2align	8
	.type	_ZL19rocblas_scal_kernelIlLi256EdddPdEviT3_lT4_lT_li,@function
_ZL19rocblas_scal_kernelIlLi256EdddPdEviT3_lT4_lT_li: ; @_ZL19rocblas_scal_kernelIlLi256EdddPdEviT3_lT4_lT_li
; %bb.0:
	s_load_dwordx2 s[0:1], s[4:5], 0x8
	s_load_dword s8, s[4:5], 0x0
	v_lshl_or_b32 v0, s6, 8, v0
	s_waitcnt lgkmcnt(0)
	v_cmp_neq_f64_e64 s[2:3], s[0:1], 1.0
	v_cmp_gt_u32_e32 vcc, s8, v0
	s_and_b64 s[2:3], vcc, s[2:3]
	s_and_saveexec_b64 s[8:9], s[2:3]
	s_cbranch_execz .LBB129_2
; %bb.1:
	s_load_dwordx8 s[8:15], s[4:5], 0x18
	s_waitcnt lgkmcnt(0)
	s_mul_i32 s3, s15, s7
	s_mul_hi_u32 s6, s14, s7
	v_mad_u64_u32 v[1:2], s[4:5], s12, v0, 0
	s_mul_i32 s2, s14, s7
	s_add_i32 s3, s6, s3
	s_lshl_b64 s[2:3], s[2:3], 3
	s_add_u32 s4, s8, s2
	s_addc_u32 s5, s9, s3
	v_mad_u64_u32 v[2:3], s[2:3], s13, v0, v[2:3]
	s_lshl_b64 s[2:3], s[10:11], 3
	s_add_u32 s2, s4, s2
	v_lshlrev_b64 v[0:1], 3, v[1:2]
	s_addc_u32 s3, s5, s3
	v_mov_b32_e32 v2, s3
	v_add_co_u32_e32 v0, vcc, s2, v0
	v_addc_co_u32_e32 v1, vcc, v2, v1, vcc
	global_load_dwordx2 v[2:3], v[0:1], off
	s_waitcnt vmcnt(0)
	v_mul_f64 v[2:3], s[0:1], v[2:3]
	global_store_dwordx2 v[0:1], v[2:3], off
.LBB129_2:
	s_endpgm
	.section	.rodata,"a",@progbits
	.p2align	6, 0x0
	.amdhsa_kernel _ZL19rocblas_scal_kernelIlLi256EdddPdEviT3_lT4_lT_li
		.amdhsa_group_segment_fixed_size 0
		.amdhsa_private_segment_fixed_size 0
		.amdhsa_kernarg_size 60
		.amdhsa_user_sgpr_count 6
		.amdhsa_user_sgpr_private_segment_buffer 1
		.amdhsa_user_sgpr_dispatch_ptr 0
		.amdhsa_user_sgpr_queue_ptr 0
		.amdhsa_user_sgpr_kernarg_segment_ptr 1
		.amdhsa_user_sgpr_dispatch_id 0
		.amdhsa_user_sgpr_flat_scratch_init 0
		.amdhsa_user_sgpr_private_segment_size 0
		.amdhsa_uses_dynamic_stack 0
		.amdhsa_system_sgpr_private_segment_wavefront_offset 0
		.amdhsa_system_sgpr_workgroup_id_x 1
		.amdhsa_system_sgpr_workgroup_id_y 0
		.amdhsa_system_sgpr_workgroup_id_z 1
		.amdhsa_system_sgpr_workgroup_info 0
		.amdhsa_system_vgpr_workitem_id 0
		.amdhsa_next_free_vgpr 4
		.amdhsa_next_free_sgpr 16
		.amdhsa_reserve_vcc 1
		.amdhsa_reserve_flat_scratch 0
		.amdhsa_float_round_mode_32 0
		.amdhsa_float_round_mode_16_64 0
		.amdhsa_float_denorm_mode_32 3
		.amdhsa_float_denorm_mode_16_64 3
		.amdhsa_dx10_clamp 1
		.amdhsa_ieee_mode 1
		.amdhsa_fp16_overflow 0
		.amdhsa_exception_fp_ieee_invalid_op 0
		.amdhsa_exception_fp_denorm_src 0
		.amdhsa_exception_fp_ieee_div_zero 0
		.amdhsa_exception_fp_ieee_overflow 0
		.amdhsa_exception_fp_ieee_underflow 0
		.amdhsa_exception_fp_ieee_inexact 0
		.amdhsa_exception_int_div_zero 0
	.end_amdhsa_kernel
	.section	.text._ZL19rocblas_scal_kernelIlLi256EdddPdEviT3_lT4_lT_li,"axG",@progbits,_ZL19rocblas_scal_kernelIlLi256EdddPdEviT3_lT4_lT_li,comdat
.Lfunc_end129:
	.size	_ZL19rocblas_scal_kernelIlLi256EdddPdEviT3_lT4_lT_li, .Lfunc_end129-_ZL19rocblas_scal_kernelIlLi256EdddPdEviT3_lT4_lT_li
                                        ; -- End function
	.set _ZL19rocblas_scal_kernelIlLi256EdddPdEviT3_lT4_lT_li.num_vgpr, 4
	.set _ZL19rocblas_scal_kernelIlLi256EdddPdEviT3_lT4_lT_li.num_agpr, 0
	.set _ZL19rocblas_scal_kernelIlLi256EdddPdEviT3_lT4_lT_li.numbered_sgpr, 16
	.set _ZL19rocblas_scal_kernelIlLi256EdddPdEviT3_lT4_lT_li.num_named_barrier, 0
	.set _ZL19rocblas_scal_kernelIlLi256EdddPdEviT3_lT4_lT_li.private_seg_size, 0
	.set _ZL19rocblas_scal_kernelIlLi256EdddPdEviT3_lT4_lT_li.uses_vcc, 1
	.set _ZL19rocblas_scal_kernelIlLi256EdddPdEviT3_lT4_lT_li.uses_flat_scratch, 0
	.set _ZL19rocblas_scal_kernelIlLi256EdddPdEviT3_lT4_lT_li.has_dyn_sized_stack, 0
	.set _ZL19rocblas_scal_kernelIlLi256EdddPdEviT3_lT4_lT_li.has_recursion, 0
	.set _ZL19rocblas_scal_kernelIlLi256EdddPdEviT3_lT4_lT_li.has_indirect_call, 0
	.section	.AMDGPU.csdata,"",@progbits
; Kernel info:
; codeLenInByte = 172
; TotalNumSgprs: 20
; NumVgprs: 4
; ScratchSize: 0
; MemoryBound: 0
; FloatMode: 240
; IeeeMode: 1
; LDSByteSize: 0 bytes/workgroup (compile time only)
; SGPRBlocks: 2
; VGPRBlocks: 0
; NumSGPRsForWavesPerEU: 20
; NumVGPRsForWavesPerEU: 4
; Occupancy: 10
; WaveLimiterHint : 0
; COMPUTE_PGM_RSRC2:SCRATCH_EN: 0
; COMPUTE_PGM_RSRC2:USER_SGPR: 6
; COMPUTE_PGM_RSRC2:TRAP_HANDLER: 0
; COMPUTE_PGM_RSRC2:TGID_X_EN: 1
; COMPUTE_PGM_RSRC2:TGID_Y_EN: 0
; COMPUTE_PGM_RSRC2:TGID_Z_EN: 1
; COMPUTE_PGM_RSRC2:TIDIG_COMP_CNT: 0
	.section	.text._ZL22rocblas_sscal_2_kernelILi256EddPKdPKPdEviT2_lT3_lli,"axG",@progbits,_ZL22rocblas_sscal_2_kernelILi256EddPKdPKPdEviT2_lT3_lli,comdat
	.globl	_ZL22rocblas_sscal_2_kernelILi256EddPKdPKPdEviT2_lT3_lli ; -- Begin function _ZL22rocblas_sscal_2_kernelILi256EddPKdPKPdEviT2_lT3_lli
	.p2align	8
	.type	_ZL22rocblas_sscal_2_kernelILi256EddPKdPKPdEviT2_lT3_lli,@function
_ZL22rocblas_sscal_2_kernelILi256EddPKdPKPdEviT2_lT3_lli: ; @_ZL22rocblas_sscal_2_kernelILi256EddPKdPKPdEviT2_lT3_lli
; %bb.0:
	s_load_dwordx4 s[8:11], s[4:5], 0x8
	s_waitcnt lgkmcnt(0)
	s_mul_i32 s0, s11, s7
	s_mul_hi_u32 s1, s10, s7
	s_add_i32 s1, s1, s0
	s_mul_i32 s0, s10, s7
	s_lshl_b64 s[0:1], s[0:1], 3
	s_add_u32 s0, s8, s0
	s_addc_u32 s1, s9, s1
	s_load_dwordx2 s[0:1], s[0:1], 0x0
	s_waitcnt lgkmcnt(0)
	v_cmp_eq_f64_e64 s[8:9], s[0:1], 1.0
	s_and_b64 vcc, exec, s[8:9]
	s_cbranch_vccnz .LBB130_5
; %bb.1:
	s_load_dwordx4 s[8:11], s[4:5], 0x18
	s_mov_b32 s2, s7
	s_mov_b32 s3, 0
	s_lshl_b64 s[2:3], s[2:3], 3
	s_load_dword s4, s[4:5], 0x0
	s_waitcnt lgkmcnt(0)
	s_add_u32 s2, s8, s2
	s_addc_u32 s3, s9, s3
	s_load_dwordx2 s[2:3], s[2:3], 0x0
	v_lshlrev_b32_e32 v0, 1, v0
	v_lshl_or_b32 v0, s6, 9, v0
	s_lshl_b64 s[6:7], s[10:11], 3
	v_or_b32_e32 v1, 1, v0
	s_waitcnt lgkmcnt(0)
	s_add_u32 s5, s2, s6
	s_addc_u32 s6, s3, s7
	v_cmp_gt_u32_e32 vcc, s4, v1
	s_and_saveexec_b64 s[2:3], vcc
	s_cbranch_execz .LBB130_3
; %bb.2:
	v_mov_b32_e32 v1, 0
	v_lshlrev_b64 v[1:2], 3, v[0:1]
	v_mov_b32_e32 v3, s6
	v_add_co_u32_e32 v5, vcc, s5, v1
	v_addc_co_u32_e32 v6, vcc, v3, v2, vcc
	flat_load_dwordx4 v[1:4], v[5:6]
	s_waitcnt vmcnt(0) lgkmcnt(0)
	v_mul_f64 v[1:2], s[0:1], v[1:2]
	v_mul_f64 v[3:4], s[0:1], v[3:4]
	flat_store_dwordx4 v[5:6], v[1:4]
.LBB130_3:
	s_or_b64 exec, exec, s[2:3]
	s_bitcmp1_b32 s4, 0
	s_cselect_b64 s[2:3], -1, 0
	s_add_i32 s4, s4, -1
	v_cmp_eq_u32_e32 vcc, s4, v0
	s_and_b64 s[2:3], s[2:3], vcc
	s_and_saveexec_b64 s[8:9], s[2:3]
	s_cbranch_execz .LBB130_5
; %bb.4:
	v_mov_b32_e32 v1, 0
	v_lshlrev_b64 v[0:1], 3, v[0:1]
	v_mov_b32_e32 v2, s6
	v_add_co_u32_e32 v0, vcc, s5, v0
	v_addc_co_u32_e32 v1, vcc, v2, v1, vcc
	flat_load_dwordx2 v[2:3], v[0:1]
	s_waitcnt vmcnt(0) lgkmcnt(0)
	v_mul_f64 v[2:3], s[0:1], v[2:3]
	flat_store_dwordx2 v[0:1], v[2:3]
.LBB130_5:
	s_endpgm
	.section	.rodata,"a",@progbits
	.p2align	6, 0x0
	.amdhsa_kernel _ZL22rocblas_sscal_2_kernelILi256EddPKdPKPdEviT2_lT3_lli
		.amdhsa_group_segment_fixed_size 0
		.amdhsa_private_segment_fixed_size 0
		.amdhsa_kernarg_size 52
		.amdhsa_user_sgpr_count 6
		.amdhsa_user_sgpr_private_segment_buffer 1
		.amdhsa_user_sgpr_dispatch_ptr 0
		.amdhsa_user_sgpr_queue_ptr 0
		.amdhsa_user_sgpr_kernarg_segment_ptr 1
		.amdhsa_user_sgpr_dispatch_id 0
		.amdhsa_user_sgpr_flat_scratch_init 0
		.amdhsa_user_sgpr_private_segment_size 0
		.amdhsa_uses_dynamic_stack 0
		.amdhsa_system_sgpr_private_segment_wavefront_offset 0
		.amdhsa_system_sgpr_workgroup_id_x 1
		.amdhsa_system_sgpr_workgroup_id_y 0
		.amdhsa_system_sgpr_workgroup_id_z 1
		.amdhsa_system_sgpr_workgroup_info 0
		.amdhsa_system_vgpr_workitem_id 0
		.amdhsa_next_free_vgpr 7
		.amdhsa_next_free_sgpr 12
		.amdhsa_reserve_vcc 1
		.amdhsa_reserve_flat_scratch 0
		.amdhsa_float_round_mode_32 0
		.amdhsa_float_round_mode_16_64 0
		.amdhsa_float_denorm_mode_32 3
		.amdhsa_float_denorm_mode_16_64 3
		.amdhsa_dx10_clamp 1
		.amdhsa_ieee_mode 1
		.amdhsa_fp16_overflow 0
		.amdhsa_exception_fp_ieee_invalid_op 0
		.amdhsa_exception_fp_denorm_src 0
		.amdhsa_exception_fp_ieee_div_zero 0
		.amdhsa_exception_fp_ieee_overflow 0
		.amdhsa_exception_fp_ieee_underflow 0
		.amdhsa_exception_fp_ieee_inexact 0
		.amdhsa_exception_int_div_zero 0
	.end_amdhsa_kernel
	.section	.text._ZL22rocblas_sscal_2_kernelILi256EddPKdPKPdEviT2_lT3_lli,"axG",@progbits,_ZL22rocblas_sscal_2_kernelILi256EddPKdPKPdEviT2_lT3_lli,comdat
.Lfunc_end130:
	.size	_ZL22rocblas_sscal_2_kernelILi256EddPKdPKPdEviT2_lT3_lli, .Lfunc_end130-_ZL22rocblas_sscal_2_kernelILi256EddPKdPKPdEviT2_lT3_lli
                                        ; -- End function
	.set _ZL22rocblas_sscal_2_kernelILi256EddPKdPKPdEviT2_lT3_lli.num_vgpr, 7
	.set _ZL22rocblas_sscal_2_kernelILi256EddPKdPKPdEviT2_lT3_lli.num_agpr, 0
	.set _ZL22rocblas_sscal_2_kernelILi256EddPKdPKPdEviT2_lT3_lli.numbered_sgpr, 12
	.set _ZL22rocblas_sscal_2_kernelILi256EddPKdPKPdEviT2_lT3_lli.num_named_barrier, 0
	.set _ZL22rocblas_sscal_2_kernelILi256EddPKdPKPdEviT2_lT3_lli.private_seg_size, 0
	.set _ZL22rocblas_sscal_2_kernelILi256EddPKdPKPdEviT2_lT3_lli.uses_vcc, 1
	.set _ZL22rocblas_sscal_2_kernelILi256EddPKdPKPdEviT2_lT3_lli.uses_flat_scratch, 0
	.set _ZL22rocblas_sscal_2_kernelILi256EddPKdPKPdEviT2_lT3_lli.has_dyn_sized_stack, 0
	.set _ZL22rocblas_sscal_2_kernelILi256EddPKdPKPdEviT2_lT3_lli.has_recursion, 0
	.set _ZL22rocblas_sscal_2_kernelILi256EddPKdPKPdEviT2_lT3_lli.has_indirect_call, 0
	.section	.AMDGPU.csdata,"",@progbits
; Kernel info:
; codeLenInByte = 308
; TotalNumSgprs: 16
; NumVgprs: 7
; ScratchSize: 0
; MemoryBound: 0
; FloatMode: 240
; IeeeMode: 1
; LDSByteSize: 0 bytes/workgroup (compile time only)
; SGPRBlocks: 1
; VGPRBlocks: 1
; NumSGPRsForWavesPerEU: 16
; NumVGPRsForWavesPerEU: 7
; Occupancy: 10
; WaveLimiterHint : 1
; COMPUTE_PGM_RSRC2:SCRATCH_EN: 0
; COMPUTE_PGM_RSRC2:USER_SGPR: 6
; COMPUTE_PGM_RSRC2:TRAP_HANDLER: 0
; COMPUTE_PGM_RSRC2:TGID_X_EN: 1
; COMPUTE_PGM_RSRC2:TGID_Y_EN: 0
; COMPUTE_PGM_RSRC2:TGID_Z_EN: 1
; COMPUTE_PGM_RSRC2:TIDIG_COMP_CNT: 0
	.section	.text._ZL22rocblas_sscal_2_kernelILi256EdddPKPdEviT2_lT3_lli,"axG",@progbits,_ZL22rocblas_sscal_2_kernelILi256EdddPKPdEviT2_lT3_lli,comdat
	.globl	_ZL22rocblas_sscal_2_kernelILi256EdddPKPdEviT2_lT3_lli ; -- Begin function _ZL22rocblas_sscal_2_kernelILi256EdddPKPdEviT2_lT3_lli
	.p2align	8
	.type	_ZL22rocblas_sscal_2_kernelILi256EdddPKPdEviT2_lT3_lli,@function
_ZL22rocblas_sscal_2_kernelILi256EdddPKPdEviT2_lT3_lli: ; @_ZL22rocblas_sscal_2_kernelILi256EdddPKPdEviT2_lT3_lli
; %bb.0:
	s_load_dwordx2 s[0:1], s[4:5], 0x8
	s_waitcnt lgkmcnt(0)
	v_cmp_eq_f64_e64 s[8:9], s[0:1], 1.0
	s_and_b64 vcc, exec, s[8:9]
	s_cbranch_vccnz .LBB131_5
; %bb.1:
	s_mov_b32 s2, s7
	s_load_dwordx4 s[8:11], s[4:5], 0x18
	s_load_dword s7, s[4:5], 0x0
	s_mov_b32 s3, 0
	s_lshl_b64 s[2:3], s[2:3], 3
	v_lshlrev_b32_e32 v0, 1, v0
	s_waitcnt lgkmcnt(0)
	s_add_u32 s2, s8, s2
	s_addc_u32 s3, s9, s3
	s_load_dwordx2 s[2:3], s[2:3], 0x0
	v_lshl_or_b32 v0, s6, 9, v0
	s_lshl_b64 s[4:5], s[10:11], 3
	v_or_b32_e32 v1, 1, v0
	v_cmp_gt_u32_e32 vcc, s7, v1
	s_waitcnt lgkmcnt(0)
	s_add_u32 s4, s2, s4
	s_addc_u32 s5, s3, s5
	s_and_saveexec_b64 s[2:3], vcc
	s_cbranch_execz .LBB131_3
; %bb.2:
	v_mov_b32_e32 v1, 0
	v_lshlrev_b64 v[1:2], 3, v[0:1]
	v_mov_b32_e32 v3, s5
	v_add_co_u32_e32 v5, vcc, s4, v1
	v_addc_co_u32_e32 v6, vcc, v3, v2, vcc
	flat_load_dwordx4 v[1:4], v[5:6]
	s_waitcnt vmcnt(0) lgkmcnt(0)
	v_mul_f64 v[1:2], s[0:1], v[1:2]
	v_mul_f64 v[3:4], s[0:1], v[3:4]
	flat_store_dwordx4 v[5:6], v[1:4]
.LBB131_3:
	s_or_b64 exec, exec, s[2:3]
	s_bitcmp1_b32 s7, 0
	s_cselect_b64 s[2:3], -1, 0
	s_add_i32 s7, s7, -1
	v_cmp_eq_u32_e32 vcc, s7, v0
	s_and_b64 s[2:3], s[2:3], vcc
	s_and_saveexec_b64 s[6:7], s[2:3]
	s_cbranch_execz .LBB131_5
; %bb.4:
	v_mov_b32_e32 v1, 0
	v_lshlrev_b64 v[0:1], 3, v[0:1]
	v_mov_b32_e32 v2, s5
	v_add_co_u32_e32 v0, vcc, s4, v0
	v_addc_co_u32_e32 v1, vcc, v2, v1, vcc
	flat_load_dwordx2 v[2:3], v[0:1]
	s_waitcnt vmcnt(0) lgkmcnt(0)
	v_mul_f64 v[2:3], s[0:1], v[2:3]
	flat_store_dwordx2 v[0:1], v[2:3]
.LBB131_5:
	s_endpgm
	.section	.rodata,"a",@progbits
	.p2align	6, 0x0
	.amdhsa_kernel _ZL22rocblas_sscal_2_kernelILi256EdddPKPdEviT2_lT3_lli
		.amdhsa_group_segment_fixed_size 0
		.amdhsa_private_segment_fixed_size 0
		.amdhsa_kernarg_size 52
		.amdhsa_user_sgpr_count 6
		.amdhsa_user_sgpr_private_segment_buffer 1
		.amdhsa_user_sgpr_dispatch_ptr 0
		.amdhsa_user_sgpr_queue_ptr 0
		.amdhsa_user_sgpr_kernarg_segment_ptr 1
		.amdhsa_user_sgpr_dispatch_id 0
		.amdhsa_user_sgpr_flat_scratch_init 0
		.amdhsa_user_sgpr_private_segment_size 0
		.amdhsa_uses_dynamic_stack 0
		.amdhsa_system_sgpr_private_segment_wavefront_offset 0
		.amdhsa_system_sgpr_workgroup_id_x 1
		.amdhsa_system_sgpr_workgroup_id_y 0
		.amdhsa_system_sgpr_workgroup_id_z 1
		.amdhsa_system_sgpr_workgroup_info 0
		.amdhsa_system_vgpr_workitem_id 0
		.amdhsa_next_free_vgpr 7
		.amdhsa_next_free_sgpr 12
		.amdhsa_reserve_vcc 1
		.amdhsa_reserve_flat_scratch 0
		.amdhsa_float_round_mode_32 0
		.amdhsa_float_round_mode_16_64 0
		.amdhsa_float_denorm_mode_32 3
		.amdhsa_float_denorm_mode_16_64 3
		.amdhsa_dx10_clamp 1
		.amdhsa_ieee_mode 1
		.amdhsa_fp16_overflow 0
		.amdhsa_exception_fp_ieee_invalid_op 0
		.amdhsa_exception_fp_denorm_src 0
		.amdhsa_exception_fp_ieee_div_zero 0
		.amdhsa_exception_fp_ieee_overflow 0
		.amdhsa_exception_fp_ieee_underflow 0
		.amdhsa_exception_fp_ieee_inexact 0
		.amdhsa_exception_int_div_zero 0
	.end_amdhsa_kernel
	.section	.text._ZL22rocblas_sscal_2_kernelILi256EdddPKPdEviT2_lT3_lli,"axG",@progbits,_ZL22rocblas_sscal_2_kernelILi256EdddPKPdEviT2_lT3_lli,comdat
.Lfunc_end131:
	.size	_ZL22rocblas_sscal_2_kernelILi256EdddPKPdEviT2_lT3_lli, .Lfunc_end131-_ZL22rocblas_sscal_2_kernelILi256EdddPKPdEviT2_lT3_lli
                                        ; -- End function
	.set _ZL22rocblas_sscal_2_kernelILi256EdddPKPdEviT2_lT3_lli.num_vgpr, 7
	.set _ZL22rocblas_sscal_2_kernelILi256EdddPKPdEviT2_lT3_lli.num_agpr, 0
	.set _ZL22rocblas_sscal_2_kernelILi256EdddPKPdEviT2_lT3_lli.numbered_sgpr, 12
	.set _ZL22rocblas_sscal_2_kernelILi256EdddPKPdEviT2_lT3_lli.num_named_barrier, 0
	.set _ZL22rocblas_sscal_2_kernelILi256EdddPKPdEviT2_lT3_lli.private_seg_size, 0
	.set _ZL22rocblas_sscal_2_kernelILi256EdddPKPdEviT2_lT3_lli.uses_vcc, 1
	.set _ZL22rocblas_sscal_2_kernelILi256EdddPKPdEviT2_lT3_lli.uses_flat_scratch, 0
	.set _ZL22rocblas_sscal_2_kernelILi256EdddPKPdEviT2_lT3_lli.has_dyn_sized_stack, 0
	.set _ZL22rocblas_sscal_2_kernelILi256EdddPKPdEviT2_lT3_lli.has_recursion, 0
	.set _ZL22rocblas_sscal_2_kernelILi256EdddPKPdEviT2_lT3_lli.has_indirect_call, 0
	.section	.AMDGPU.csdata,"",@progbits
; Kernel info:
; codeLenInByte = 268
; TotalNumSgprs: 16
; NumVgprs: 7
; ScratchSize: 0
; MemoryBound: 0
; FloatMode: 240
; IeeeMode: 1
; LDSByteSize: 0 bytes/workgroup (compile time only)
; SGPRBlocks: 1
; VGPRBlocks: 1
; NumSGPRsForWavesPerEU: 16
; NumVGPRsForWavesPerEU: 7
; Occupancy: 10
; WaveLimiterHint : 1
; COMPUTE_PGM_RSRC2:SCRATCH_EN: 0
; COMPUTE_PGM_RSRC2:USER_SGPR: 6
; COMPUTE_PGM_RSRC2:TRAP_HANDLER: 0
; COMPUTE_PGM_RSRC2:TGID_X_EN: 1
; COMPUTE_PGM_RSRC2:TGID_Y_EN: 0
; COMPUTE_PGM_RSRC2:TGID_Z_EN: 1
; COMPUTE_PGM_RSRC2:TIDIG_COMP_CNT: 0
	.section	.text._ZL19rocblas_scal_kernelIiLi256EddPKdPKPdEviT3_lT4_lT_li,"axG",@progbits,_ZL19rocblas_scal_kernelIiLi256EddPKdPKPdEviT3_lT4_lT_li,comdat
	.globl	_ZL19rocblas_scal_kernelIiLi256EddPKdPKPdEviT3_lT4_lT_li ; -- Begin function _ZL19rocblas_scal_kernelIiLi256EddPKdPKPdEviT3_lT4_lT_li
	.p2align	8
	.type	_ZL19rocblas_scal_kernelIiLi256EddPKdPKPdEviT3_lT4_lT_li,@function
_ZL19rocblas_scal_kernelIiLi256EddPKdPKPdEviT3_lT4_lT_li: ; @_ZL19rocblas_scal_kernelIiLi256EddPKdPKPdEviT3_lT4_lT_li
; %bb.0:
	s_load_dwordx8 s[8:15], s[4:5], 0x8
	s_load_dword s3, s[4:5], 0x0
	v_lshl_or_b32 v0, s6, 8, v0
	s_mov_b32 s2, s7
	s_waitcnt lgkmcnt(0)
	s_mul_i32 s0, s11, s7
	s_mul_hi_u32 s1, s10, s7
	s_add_i32 s1, s1, s0
	s_mul_i32 s0, s10, s7
	s_lshl_b64 s[0:1], s[0:1], 3
	s_add_u32 s0, s8, s0
	s_addc_u32 s1, s9, s1
	s_load_dwordx2 s[0:1], s[0:1], 0x0
	v_cmp_gt_u32_e32 vcc, s3, v0
	s_waitcnt lgkmcnt(0)
	v_cmp_neq_f64_e64 s[8:9], s[0:1], 1.0
	s_and_b64 s[6:7], vcc, s[8:9]
	s_and_saveexec_b64 s[8:9], s[6:7]
	s_cbranch_execz .LBB132_2
; %bb.1:
	s_load_dword s4, s[4:5], 0x28
	s_mov_b32 s3, 0
	s_lshl_b64 s[2:3], s[2:3], 3
	s_waitcnt lgkmcnt(0)
	s_ashr_i32 s6, s4, 31
	v_mad_u64_u32 v[1:2], s[4:5], s4, v0, 0
	s_add_u32 s2, s12, s2
	s_addc_u32 s3, s13, s3
	s_load_dwordx2 s[2:3], s[2:3], 0x0
	v_mad_u64_u32 v[2:3], s[4:5], s6, v0, v[2:3]
	s_lshl_b64 s[4:5], s[14:15], 3
	s_waitcnt lgkmcnt(0)
	s_add_u32 s2, s2, s4
	v_lshlrev_b64 v[0:1], 3, v[1:2]
	s_addc_u32 s3, s3, s5
	v_mov_b32_e32 v2, s3
	v_add_co_u32_e32 v0, vcc, s2, v0
	v_addc_co_u32_e32 v1, vcc, v2, v1, vcc
	flat_load_dwordx2 v[2:3], v[0:1]
	s_waitcnt vmcnt(0) lgkmcnt(0)
	v_mul_f64 v[2:3], s[0:1], v[2:3]
	flat_store_dwordx2 v[0:1], v[2:3]
.LBB132_2:
	s_endpgm
	.section	.rodata,"a",@progbits
	.p2align	6, 0x0
	.amdhsa_kernel _ZL19rocblas_scal_kernelIiLi256EddPKdPKPdEviT3_lT4_lT_li
		.amdhsa_group_segment_fixed_size 0
		.amdhsa_private_segment_fixed_size 0
		.amdhsa_kernarg_size 60
		.amdhsa_user_sgpr_count 6
		.amdhsa_user_sgpr_private_segment_buffer 1
		.amdhsa_user_sgpr_dispatch_ptr 0
		.amdhsa_user_sgpr_queue_ptr 0
		.amdhsa_user_sgpr_kernarg_segment_ptr 1
		.amdhsa_user_sgpr_dispatch_id 0
		.amdhsa_user_sgpr_flat_scratch_init 0
		.amdhsa_user_sgpr_private_segment_size 0
		.amdhsa_uses_dynamic_stack 0
		.amdhsa_system_sgpr_private_segment_wavefront_offset 0
		.amdhsa_system_sgpr_workgroup_id_x 1
		.amdhsa_system_sgpr_workgroup_id_y 0
		.amdhsa_system_sgpr_workgroup_id_z 1
		.amdhsa_system_sgpr_workgroup_info 0
		.amdhsa_system_vgpr_workitem_id 0
		.amdhsa_next_free_vgpr 4
		.amdhsa_next_free_sgpr 16
		.amdhsa_reserve_vcc 1
		.amdhsa_reserve_flat_scratch 0
		.amdhsa_float_round_mode_32 0
		.amdhsa_float_round_mode_16_64 0
		.amdhsa_float_denorm_mode_32 3
		.amdhsa_float_denorm_mode_16_64 3
		.amdhsa_dx10_clamp 1
		.amdhsa_ieee_mode 1
		.amdhsa_fp16_overflow 0
		.amdhsa_exception_fp_ieee_invalid_op 0
		.amdhsa_exception_fp_denorm_src 0
		.amdhsa_exception_fp_ieee_div_zero 0
		.amdhsa_exception_fp_ieee_overflow 0
		.amdhsa_exception_fp_ieee_underflow 0
		.amdhsa_exception_fp_ieee_inexact 0
		.amdhsa_exception_int_div_zero 0
	.end_amdhsa_kernel
	.section	.text._ZL19rocblas_scal_kernelIiLi256EddPKdPKPdEviT3_lT4_lT_li,"axG",@progbits,_ZL19rocblas_scal_kernelIiLi256EddPKdPKPdEviT3_lT4_lT_li,comdat
.Lfunc_end132:
	.size	_ZL19rocblas_scal_kernelIiLi256EddPKdPKPdEviT3_lT4_lT_li, .Lfunc_end132-_ZL19rocblas_scal_kernelIiLi256EddPKdPKPdEviT3_lT4_lT_li
                                        ; -- End function
	.set _ZL19rocblas_scal_kernelIiLi256EddPKdPKPdEviT3_lT4_lT_li.num_vgpr, 4
	.set _ZL19rocblas_scal_kernelIiLi256EddPKdPKPdEviT3_lT4_lT_li.num_agpr, 0
	.set _ZL19rocblas_scal_kernelIiLi256EddPKdPKPdEviT3_lT4_lT_li.numbered_sgpr, 16
	.set _ZL19rocblas_scal_kernelIiLi256EddPKdPKPdEviT3_lT4_lT_li.num_named_barrier, 0
	.set _ZL19rocblas_scal_kernelIiLi256EddPKdPKPdEviT3_lT4_lT_li.private_seg_size, 0
	.set _ZL19rocblas_scal_kernelIiLi256EddPKdPKPdEviT3_lT4_lT_li.uses_vcc, 1
	.set _ZL19rocblas_scal_kernelIiLi256EddPKdPKPdEviT3_lT4_lT_li.uses_flat_scratch, 0
	.set _ZL19rocblas_scal_kernelIiLi256EddPKdPKPdEviT3_lT4_lT_li.has_dyn_sized_stack, 0
	.set _ZL19rocblas_scal_kernelIiLi256EddPKdPKPdEviT3_lT4_lT_li.has_recursion, 0
	.set _ZL19rocblas_scal_kernelIiLi256EddPKdPKPdEviT3_lT4_lT_li.has_indirect_call, 0
	.section	.AMDGPU.csdata,"",@progbits
; Kernel info:
; codeLenInByte = 220
; TotalNumSgprs: 20
; NumVgprs: 4
; ScratchSize: 0
; MemoryBound: 0
; FloatMode: 240
; IeeeMode: 1
; LDSByteSize: 0 bytes/workgroup (compile time only)
; SGPRBlocks: 2
; VGPRBlocks: 0
; NumSGPRsForWavesPerEU: 20
; NumVGPRsForWavesPerEU: 4
; Occupancy: 10
; WaveLimiterHint : 1
; COMPUTE_PGM_RSRC2:SCRATCH_EN: 0
; COMPUTE_PGM_RSRC2:USER_SGPR: 6
; COMPUTE_PGM_RSRC2:TRAP_HANDLER: 0
; COMPUTE_PGM_RSRC2:TGID_X_EN: 1
; COMPUTE_PGM_RSRC2:TGID_Y_EN: 0
; COMPUTE_PGM_RSRC2:TGID_Z_EN: 1
; COMPUTE_PGM_RSRC2:TIDIG_COMP_CNT: 0
	.section	.text._ZL19rocblas_scal_kernelIiLi256EdddPKPdEviT3_lT4_lT_li,"axG",@progbits,_ZL19rocblas_scal_kernelIiLi256EdddPKPdEviT3_lT4_lT_li,comdat
	.globl	_ZL19rocblas_scal_kernelIiLi256EdddPKPdEviT3_lT4_lT_li ; -- Begin function _ZL19rocblas_scal_kernelIiLi256EdddPKPdEviT3_lT4_lT_li
	.p2align	8
	.type	_ZL19rocblas_scal_kernelIiLi256EdddPKPdEviT3_lT4_lT_li,@function
_ZL19rocblas_scal_kernelIiLi256EdddPKPdEviT3_lT4_lT_li: ; @_ZL19rocblas_scal_kernelIiLi256EdddPKPdEviT3_lT4_lT_li
; %bb.0:
	s_load_dwordx2 s[0:1], s[4:5], 0x8
	s_load_dword s3, s[4:5], 0x0
	v_lshl_or_b32 v0, s6, 8, v0
	s_mov_b32 s2, s7
	s_waitcnt lgkmcnt(0)
	v_cmp_neq_f64_e64 s[8:9], s[0:1], 1.0
	v_cmp_gt_u32_e32 vcc, s3, v0
	s_and_b64 s[6:7], vcc, s[8:9]
	s_and_saveexec_b64 s[8:9], s[6:7]
	s_cbranch_execz .LBB133_2
; %bb.1:
	s_load_dword s6, s[4:5], 0x28
	s_load_dwordx4 s[8:11], s[4:5], 0x18
	s_mov_b32 s3, 0
	s_lshl_b64 s[2:3], s[2:3], 3
	s_waitcnt lgkmcnt(0)
	s_ashr_i32 s7, s6, 31
	v_mad_u64_u32 v[1:2], s[4:5], s6, v0, 0
	s_add_u32 s2, s8, s2
	s_addc_u32 s3, s9, s3
	s_load_dwordx2 s[2:3], s[2:3], 0x0
	v_mad_u64_u32 v[2:3], s[4:5], s7, v0, v[2:3]
	s_lshl_b64 s[4:5], s[10:11], 3
	s_waitcnt lgkmcnt(0)
	s_add_u32 s2, s2, s4
	v_lshlrev_b64 v[0:1], 3, v[1:2]
	s_addc_u32 s3, s3, s5
	v_mov_b32_e32 v2, s3
	v_add_co_u32_e32 v0, vcc, s2, v0
	v_addc_co_u32_e32 v1, vcc, v2, v1, vcc
	flat_load_dwordx2 v[2:3], v[0:1]
	s_waitcnt vmcnt(0) lgkmcnt(0)
	v_mul_f64 v[2:3], s[0:1], v[2:3]
	flat_store_dwordx2 v[0:1], v[2:3]
.LBB133_2:
	s_endpgm
	.section	.rodata,"a",@progbits
	.p2align	6, 0x0
	.amdhsa_kernel _ZL19rocblas_scal_kernelIiLi256EdddPKPdEviT3_lT4_lT_li
		.amdhsa_group_segment_fixed_size 0
		.amdhsa_private_segment_fixed_size 0
		.amdhsa_kernarg_size 60
		.amdhsa_user_sgpr_count 6
		.amdhsa_user_sgpr_private_segment_buffer 1
		.amdhsa_user_sgpr_dispatch_ptr 0
		.amdhsa_user_sgpr_queue_ptr 0
		.amdhsa_user_sgpr_kernarg_segment_ptr 1
		.amdhsa_user_sgpr_dispatch_id 0
		.amdhsa_user_sgpr_flat_scratch_init 0
		.amdhsa_user_sgpr_private_segment_size 0
		.amdhsa_uses_dynamic_stack 0
		.amdhsa_system_sgpr_private_segment_wavefront_offset 0
		.amdhsa_system_sgpr_workgroup_id_x 1
		.amdhsa_system_sgpr_workgroup_id_y 0
		.amdhsa_system_sgpr_workgroup_id_z 1
		.amdhsa_system_sgpr_workgroup_info 0
		.amdhsa_system_vgpr_workitem_id 0
		.amdhsa_next_free_vgpr 4
		.amdhsa_next_free_sgpr 12
		.amdhsa_reserve_vcc 1
		.amdhsa_reserve_flat_scratch 0
		.amdhsa_float_round_mode_32 0
		.amdhsa_float_round_mode_16_64 0
		.amdhsa_float_denorm_mode_32 3
		.amdhsa_float_denorm_mode_16_64 3
		.amdhsa_dx10_clamp 1
		.amdhsa_ieee_mode 1
		.amdhsa_fp16_overflow 0
		.amdhsa_exception_fp_ieee_invalid_op 0
		.amdhsa_exception_fp_denorm_src 0
		.amdhsa_exception_fp_ieee_div_zero 0
		.amdhsa_exception_fp_ieee_overflow 0
		.amdhsa_exception_fp_ieee_underflow 0
		.amdhsa_exception_fp_ieee_inexact 0
		.amdhsa_exception_int_div_zero 0
	.end_amdhsa_kernel
	.section	.text._ZL19rocblas_scal_kernelIiLi256EdddPKPdEviT3_lT4_lT_li,"axG",@progbits,_ZL19rocblas_scal_kernelIiLi256EdddPKPdEviT3_lT4_lT_li,comdat
.Lfunc_end133:
	.size	_ZL19rocblas_scal_kernelIiLi256EdddPKPdEviT3_lT4_lT_li, .Lfunc_end133-_ZL19rocblas_scal_kernelIiLi256EdddPKPdEviT3_lT4_lT_li
                                        ; -- End function
	.set _ZL19rocblas_scal_kernelIiLi256EdddPKPdEviT3_lT4_lT_li.num_vgpr, 4
	.set _ZL19rocblas_scal_kernelIiLi256EdddPKPdEviT3_lT4_lT_li.num_agpr, 0
	.set _ZL19rocblas_scal_kernelIiLi256EdddPKPdEviT3_lT4_lT_li.numbered_sgpr, 12
	.set _ZL19rocblas_scal_kernelIiLi256EdddPKPdEviT3_lT4_lT_li.num_named_barrier, 0
	.set _ZL19rocblas_scal_kernelIiLi256EdddPKPdEviT3_lT4_lT_li.private_seg_size, 0
	.set _ZL19rocblas_scal_kernelIiLi256EdddPKPdEviT3_lT4_lT_li.uses_vcc, 1
	.set _ZL19rocblas_scal_kernelIiLi256EdddPKPdEviT3_lT4_lT_li.uses_flat_scratch, 0
	.set _ZL19rocblas_scal_kernelIiLi256EdddPKPdEviT3_lT4_lT_li.has_dyn_sized_stack, 0
	.set _ZL19rocblas_scal_kernelIiLi256EdddPKPdEviT3_lT4_lT_li.has_recursion, 0
	.set _ZL19rocblas_scal_kernelIiLi256EdddPKPdEviT3_lT4_lT_li.has_indirect_call, 0
	.section	.AMDGPU.csdata,"",@progbits
; Kernel info:
; codeLenInByte = 188
; TotalNumSgprs: 16
; NumVgprs: 4
; ScratchSize: 0
; MemoryBound: 0
; FloatMode: 240
; IeeeMode: 1
; LDSByteSize: 0 bytes/workgroup (compile time only)
; SGPRBlocks: 1
; VGPRBlocks: 0
; NumSGPRsForWavesPerEU: 16
; NumVGPRsForWavesPerEU: 4
; Occupancy: 10
; WaveLimiterHint : 1
; COMPUTE_PGM_RSRC2:SCRATCH_EN: 0
; COMPUTE_PGM_RSRC2:USER_SGPR: 6
; COMPUTE_PGM_RSRC2:TRAP_HANDLER: 0
; COMPUTE_PGM_RSRC2:TGID_X_EN: 1
; COMPUTE_PGM_RSRC2:TGID_Y_EN: 0
; COMPUTE_PGM_RSRC2:TGID_Z_EN: 1
; COMPUTE_PGM_RSRC2:TIDIG_COMP_CNT: 0
	.section	.text._ZL19rocblas_scal_kernelIlLi256EddPKdPKPdEviT3_lT4_lT_li,"axG",@progbits,_ZL19rocblas_scal_kernelIlLi256EddPKdPKPdEviT3_lT4_lT_li,comdat
	.globl	_ZL19rocblas_scal_kernelIlLi256EddPKdPKPdEviT3_lT4_lT_li ; -- Begin function _ZL19rocblas_scal_kernelIlLi256EddPKdPKPdEviT3_lT4_lT_li
	.p2align	8
	.type	_ZL19rocblas_scal_kernelIlLi256EddPKdPKPdEviT3_lT4_lT_li,@function
_ZL19rocblas_scal_kernelIlLi256EddPKdPKPdEviT3_lT4_lT_li: ; @_ZL19rocblas_scal_kernelIlLi256EddPKdPKPdEviT3_lT4_lT_li
; %bb.0:
	s_load_dwordx8 s[8:15], s[4:5], 0x8
	s_load_dword s3, s[4:5], 0x0
	v_lshl_or_b32 v0, s6, 8, v0
	s_mov_b32 s2, s7
	s_waitcnt lgkmcnt(0)
	s_mul_i32 s0, s11, s7
	s_mul_hi_u32 s1, s10, s7
	s_add_i32 s1, s1, s0
	s_mul_i32 s0, s10, s7
	s_lshl_b64 s[0:1], s[0:1], 3
	s_add_u32 s0, s8, s0
	s_addc_u32 s1, s9, s1
	s_load_dwordx2 s[0:1], s[0:1], 0x0
	v_cmp_gt_u32_e32 vcc, s3, v0
	s_waitcnt lgkmcnt(0)
	v_cmp_neq_f64_e64 s[8:9], s[0:1], 1.0
	s_and_b64 s[6:7], vcc, s[8:9]
	s_and_saveexec_b64 s[8:9], s[6:7]
	s_cbranch_execz .LBB134_2
; %bb.1:
	s_load_dwordx2 s[4:5], s[4:5], 0x28
	s_mov_b32 s3, 0
	s_lshl_b64 s[2:3], s[2:3], 3
	s_add_u32 s2, s12, s2
	s_addc_u32 s3, s13, s3
	s_waitcnt lgkmcnt(0)
	v_mad_u64_u32 v[1:2], s[6:7], s4, v0, 0
	s_load_dwordx2 s[2:3], s[2:3], 0x0
	v_mad_u64_u32 v[2:3], s[4:5], s5, v0, v[2:3]
	s_lshl_b64 s[4:5], s[14:15], 3
	s_waitcnt lgkmcnt(0)
	s_add_u32 s2, s2, s4
	v_lshlrev_b64 v[0:1], 3, v[1:2]
	s_addc_u32 s3, s3, s5
	v_mov_b32_e32 v2, s3
	v_add_co_u32_e32 v0, vcc, s2, v0
	v_addc_co_u32_e32 v1, vcc, v2, v1, vcc
	flat_load_dwordx2 v[2:3], v[0:1]
	s_waitcnt vmcnt(0) lgkmcnt(0)
	v_mul_f64 v[2:3], s[0:1], v[2:3]
	flat_store_dwordx2 v[0:1], v[2:3]
.LBB134_2:
	s_endpgm
	.section	.rodata,"a",@progbits
	.p2align	6, 0x0
	.amdhsa_kernel _ZL19rocblas_scal_kernelIlLi256EddPKdPKPdEviT3_lT4_lT_li
		.amdhsa_group_segment_fixed_size 0
		.amdhsa_private_segment_fixed_size 0
		.amdhsa_kernarg_size 60
		.amdhsa_user_sgpr_count 6
		.amdhsa_user_sgpr_private_segment_buffer 1
		.amdhsa_user_sgpr_dispatch_ptr 0
		.amdhsa_user_sgpr_queue_ptr 0
		.amdhsa_user_sgpr_kernarg_segment_ptr 1
		.amdhsa_user_sgpr_dispatch_id 0
		.amdhsa_user_sgpr_flat_scratch_init 0
		.amdhsa_user_sgpr_private_segment_size 0
		.amdhsa_uses_dynamic_stack 0
		.amdhsa_system_sgpr_private_segment_wavefront_offset 0
		.amdhsa_system_sgpr_workgroup_id_x 1
		.amdhsa_system_sgpr_workgroup_id_y 0
		.amdhsa_system_sgpr_workgroup_id_z 1
		.amdhsa_system_sgpr_workgroup_info 0
		.amdhsa_system_vgpr_workitem_id 0
		.amdhsa_next_free_vgpr 4
		.amdhsa_next_free_sgpr 16
		.amdhsa_reserve_vcc 1
		.amdhsa_reserve_flat_scratch 0
		.amdhsa_float_round_mode_32 0
		.amdhsa_float_round_mode_16_64 0
		.amdhsa_float_denorm_mode_32 3
		.amdhsa_float_denorm_mode_16_64 3
		.amdhsa_dx10_clamp 1
		.amdhsa_ieee_mode 1
		.amdhsa_fp16_overflow 0
		.amdhsa_exception_fp_ieee_invalid_op 0
		.amdhsa_exception_fp_denorm_src 0
		.amdhsa_exception_fp_ieee_div_zero 0
		.amdhsa_exception_fp_ieee_overflow 0
		.amdhsa_exception_fp_ieee_underflow 0
		.amdhsa_exception_fp_ieee_inexact 0
		.amdhsa_exception_int_div_zero 0
	.end_amdhsa_kernel
	.section	.text._ZL19rocblas_scal_kernelIlLi256EddPKdPKPdEviT3_lT4_lT_li,"axG",@progbits,_ZL19rocblas_scal_kernelIlLi256EddPKdPKPdEviT3_lT4_lT_li,comdat
.Lfunc_end134:
	.size	_ZL19rocblas_scal_kernelIlLi256EddPKdPKPdEviT3_lT4_lT_li, .Lfunc_end134-_ZL19rocblas_scal_kernelIlLi256EddPKdPKPdEviT3_lT4_lT_li
                                        ; -- End function
	.set _ZL19rocblas_scal_kernelIlLi256EddPKdPKPdEviT3_lT4_lT_li.num_vgpr, 4
	.set _ZL19rocblas_scal_kernelIlLi256EddPKdPKPdEviT3_lT4_lT_li.num_agpr, 0
	.set _ZL19rocblas_scal_kernelIlLi256EddPKdPKPdEviT3_lT4_lT_li.numbered_sgpr, 16
	.set _ZL19rocblas_scal_kernelIlLi256EddPKdPKPdEviT3_lT4_lT_li.num_named_barrier, 0
	.set _ZL19rocblas_scal_kernelIlLi256EddPKdPKPdEviT3_lT4_lT_li.private_seg_size, 0
	.set _ZL19rocblas_scal_kernelIlLi256EddPKdPKPdEviT3_lT4_lT_li.uses_vcc, 1
	.set _ZL19rocblas_scal_kernelIlLi256EddPKdPKPdEviT3_lT4_lT_li.uses_flat_scratch, 0
	.set _ZL19rocblas_scal_kernelIlLi256EddPKdPKPdEviT3_lT4_lT_li.has_dyn_sized_stack, 0
	.set _ZL19rocblas_scal_kernelIlLi256EddPKdPKPdEviT3_lT4_lT_li.has_recursion, 0
	.set _ZL19rocblas_scal_kernelIlLi256EddPKdPKPdEviT3_lT4_lT_li.has_indirect_call, 0
	.section	.AMDGPU.csdata,"",@progbits
; Kernel info:
; codeLenInByte = 216
; TotalNumSgprs: 20
; NumVgprs: 4
; ScratchSize: 0
; MemoryBound: 0
; FloatMode: 240
; IeeeMode: 1
; LDSByteSize: 0 bytes/workgroup (compile time only)
; SGPRBlocks: 2
; VGPRBlocks: 0
; NumSGPRsForWavesPerEU: 20
; NumVGPRsForWavesPerEU: 4
; Occupancy: 10
; WaveLimiterHint : 1
; COMPUTE_PGM_RSRC2:SCRATCH_EN: 0
; COMPUTE_PGM_RSRC2:USER_SGPR: 6
; COMPUTE_PGM_RSRC2:TRAP_HANDLER: 0
; COMPUTE_PGM_RSRC2:TGID_X_EN: 1
; COMPUTE_PGM_RSRC2:TGID_Y_EN: 0
; COMPUTE_PGM_RSRC2:TGID_Z_EN: 1
; COMPUTE_PGM_RSRC2:TIDIG_COMP_CNT: 0
	.section	.text._ZL19rocblas_scal_kernelIlLi256EdddPKPdEviT3_lT4_lT_li,"axG",@progbits,_ZL19rocblas_scal_kernelIlLi256EdddPKPdEviT3_lT4_lT_li,comdat
	.globl	_ZL19rocblas_scal_kernelIlLi256EdddPKPdEviT3_lT4_lT_li ; -- Begin function _ZL19rocblas_scal_kernelIlLi256EdddPKPdEviT3_lT4_lT_li
	.p2align	8
	.type	_ZL19rocblas_scal_kernelIlLi256EdddPKPdEviT3_lT4_lT_li,@function
_ZL19rocblas_scal_kernelIlLi256EdddPKPdEviT3_lT4_lT_li: ; @_ZL19rocblas_scal_kernelIlLi256EdddPKPdEviT3_lT4_lT_li
; %bb.0:
	s_load_dwordx2 s[0:1], s[4:5], 0x8
	s_load_dword s3, s[4:5], 0x0
	v_lshl_or_b32 v0, s6, 8, v0
	s_mov_b32 s2, s7
	s_waitcnt lgkmcnt(0)
	v_cmp_neq_f64_e64 s[8:9], s[0:1], 1.0
	v_cmp_gt_u32_e32 vcc, s3, v0
	s_and_b64 s[6:7], vcc, s[8:9]
	s_and_saveexec_b64 s[8:9], s[6:7]
	s_cbranch_execz .LBB135_2
; %bb.1:
	s_load_dwordx2 s[6:7], s[4:5], 0x28
	s_load_dwordx4 s[8:11], s[4:5], 0x18
	s_mov_b32 s3, 0
	s_lshl_b64 s[2:3], s[2:3], 3
	s_waitcnt lgkmcnt(0)
	v_mad_u64_u32 v[1:2], s[4:5], s6, v0, 0
	s_add_u32 s2, s8, s2
	s_addc_u32 s3, s9, s3
	s_load_dwordx2 s[2:3], s[2:3], 0x0
	v_mad_u64_u32 v[2:3], s[4:5], s7, v0, v[2:3]
	s_lshl_b64 s[4:5], s[10:11], 3
	s_waitcnt lgkmcnt(0)
	s_add_u32 s2, s2, s4
	v_lshlrev_b64 v[0:1], 3, v[1:2]
	s_addc_u32 s3, s3, s5
	v_mov_b32_e32 v2, s3
	v_add_co_u32_e32 v0, vcc, s2, v0
	v_addc_co_u32_e32 v1, vcc, v2, v1, vcc
	flat_load_dwordx2 v[2:3], v[0:1]
	s_waitcnt vmcnt(0) lgkmcnt(0)
	v_mul_f64 v[2:3], s[0:1], v[2:3]
	flat_store_dwordx2 v[0:1], v[2:3]
.LBB135_2:
	s_endpgm
	.section	.rodata,"a",@progbits
	.p2align	6, 0x0
	.amdhsa_kernel _ZL19rocblas_scal_kernelIlLi256EdddPKPdEviT3_lT4_lT_li
		.amdhsa_group_segment_fixed_size 0
		.amdhsa_private_segment_fixed_size 0
		.amdhsa_kernarg_size 60
		.amdhsa_user_sgpr_count 6
		.amdhsa_user_sgpr_private_segment_buffer 1
		.amdhsa_user_sgpr_dispatch_ptr 0
		.amdhsa_user_sgpr_queue_ptr 0
		.amdhsa_user_sgpr_kernarg_segment_ptr 1
		.amdhsa_user_sgpr_dispatch_id 0
		.amdhsa_user_sgpr_flat_scratch_init 0
		.amdhsa_user_sgpr_private_segment_size 0
		.amdhsa_uses_dynamic_stack 0
		.amdhsa_system_sgpr_private_segment_wavefront_offset 0
		.amdhsa_system_sgpr_workgroup_id_x 1
		.amdhsa_system_sgpr_workgroup_id_y 0
		.amdhsa_system_sgpr_workgroup_id_z 1
		.amdhsa_system_sgpr_workgroup_info 0
		.amdhsa_system_vgpr_workitem_id 0
		.amdhsa_next_free_vgpr 4
		.amdhsa_next_free_sgpr 12
		.amdhsa_reserve_vcc 1
		.amdhsa_reserve_flat_scratch 0
		.amdhsa_float_round_mode_32 0
		.amdhsa_float_round_mode_16_64 0
		.amdhsa_float_denorm_mode_32 3
		.amdhsa_float_denorm_mode_16_64 3
		.amdhsa_dx10_clamp 1
		.amdhsa_ieee_mode 1
		.amdhsa_fp16_overflow 0
		.amdhsa_exception_fp_ieee_invalid_op 0
		.amdhsa_exception_fp_denorm_src 0
		.amdhsa_exception_fp_ieee_div_zero 0
		.amdhsa_exception_fp_ieee_overflow 0
		.amdhsa_exception_fp_ieee_underflow 0
		.amdhsa_exception_fp_ieee_inexact 0
		.amdhsa_exception_int_div_zero 0
	.end_amdhsa_kernel
	.section	.text._ZL19rocblas_scal_kernelIlLi256EdddPKPdEviT3_lT4_lT_li,"axG",@progbits,_ZL19rocblas_scal_kernelIlLi256EdddPKPdEviT3_lT4_lT_li,comdat
.Lfunc_end135:
	.size	_ZL19rocblas_scal_kernelIlLi256EdddPKPdEviT3_lT4_lT_li, .Lfunc_end135-_ZL19rocblas_scal_kernelIlLi256EdddPKPdEviT3_lT4_lT_li
                                        ; -- End function
	.set _ZL19rocblas_scal_kernelIlLi256EdddPKPdEviT3_lT4_lT_li.num_vgpr, 4
	.set _ZL19rocblas_scal_kernelIlLi256EdddPKPdEviT3_lT4_lT_li.num_agpr, 0
	.set _ZL19rocblas_scal_kernelIlLi256EdddPKPdEviT3_lT4_lT_li.numbered_sgpr, 12
	.set _ZL19rocblas_scal_kernelIlLi256EdddPKPdEviT3_lT4_lT_li.num_named_barrier, 0
	.set _ZL19rocblas_scal_kernelIlLi256EdddPKPdEviT3_lT4_lT_li.private_seg_size, 0
	.set _ZL19rocblas_scal_kernelIlLi256EdddPKPdEviT3_lT4_lT_li.uses_vcc, 1
	.set _ZL19rocblas_scal_kernelIlLi256EdddPKPdEviT3_lT4_lT_li.uses_flat_scratch, 0
	.set _ZL19rocblas_scal_kernelIlLi256EdddPKPdEviT3_lT4_lT_li.has_dyn_sized_stack, 0
	.set _ZL19rocblas_scal_kernelIlLi256EdddPKPdEviT3_lT4_lT_li.has_recursion, 0
	.set _ZL19rocblas_scal_kernelIlLi256EdddPKPdEviT3_lT4_lT_li.has_indirect_call, 0
	.section	.AMDGPU.csdata,"",@progbits
; Kernel info:
; codeLenInByte = 184
; TotalNumSgprs: 16
; NumVgprs: 4
; ScratchSize: 0
; MemoryBound: 0
; FloatMode: 240
; IeeeMode: 1
; LDSByteSize: 0 bytes/workgroup (compile time only)
; SGPRBlocks: 1
; VGPRBlocks: 0
; NumSGPRsForWavesPerEU: 16
; NumVGPRsForWavesPerEU: 4
; Occupancy: 10
; WaveLimiterHint : 1
; COMPUTE_PGM_RSRC2:SCRATCH_EN: 0
; COMPUTE_PGM_RSRC2:USER_SGPR: 6
; COMPUTE_PGM_RSRC2:TRAP_HANDLER: 0
; COMPUTE_PGM_RSRC2:TGID_X_EN: 1
; COMPUTE_PGM_RSRC2:TGID_Y_EN: 0
; COMPUTE_PGM_RSRC2:TGID_Z_EN: 1
; COMPUTE_PGM_RSRC2:TIDIG_COMP_CNT: 0
	.section	.text._ZL22rocblas_sscal_2_kernelILi256E19rocblas_complex_numIfES1_PKS1_PS1_EviT2_lT3_lli,"axG",@progbits,_ZL22rocblas_sscal_2_kernelILi256E19rocblas_complex_numIfES1_PKS1_PS1_EviT2_lT3_lli,comdat
	.globl	_ZL22rocblas_sscal_2_kernelILi256E19rocblas_complex_numIfES1_PKS1_PS1_EviT2_lT3_lli ; -- Begin function _ZL22rocblas_sscal_2_kernelILi256E19rocblas_complex_numIfES1_PKS1_PS1_EviT2_lT3_lli
	.p2align	8
	.type	_ZL22rocblas_sscal_2_kernelILi256E19rocblas_complex_numIfES1_PKS1_PS1_EviT2_lT3_lli,@function
_ZL22rocblas_sscal_2_kernelILi256E19rocblas_complex_numIfES1_PKS1_PS1_EviT2_lT3_lli: ; @_ZL22rocblas_sscal_2_kernelILi256E19rocblas_complex_numIfES1_PKS1_PS1_EviT2_lT3_lli
; %bb.0:
	s_load_dwordx4 s[0:3], s[4:5], 0x8
	s_waitcnt lgkmcnt(0)
	s_mul_i32 s3, s3, s7
	s_mul_hi_u32 s8, s2, s7
	s_add_i32 s3, s8, s3
	s_mul_i32 s2, s2, s7
	s_lshl_b64 s[2:3], s[2:3], 3
	s_add_u32 s2, s0, s2
	s_addc_u32 s3, s1, s3
	s_load_dwordx2 s[0:1], s[2:3], 0x0
	s_waitcnt lgkmcnt(0)
	v_cmp_neq_f32_e64 s[2:3], s0, 1.0
	v_cmp_neq_f32_e64 s[8:9], s1, 0
	s_or_b64 s[2:3], s[2:3], s[8:9]
	s_andn2_b64 vcc, exec, s[2:3]
	s_cbranch_vccnz .LBB136_5
; %bb.1:
	s_load_dwordx4 s[12:15], s[4:5], 0x20
	s_load_dwordx2 s[2:3], s[4:5], 0x18
	s_load_dword s8, s[4:5], 0x0
	v_lshlrev_b32_e32 v0, 1, v0
	v_lshl_or_b32 v0, s6, 9, v0
	s_waitcnt lgkmcnt(0)
	s_mul_i32 s4, s15, s7
	s_mul_hi_u32 s5, s14, s7
	s_add_i32 s5, s5, s4
	s_mul_i32 s4, s14, s7
	s_lshl_b64 s[4:5], s[4:5], 3
	s_add_u32 s4, s2, s4
	s_addc_u32 s5, s3, s5
	s_lshl_b64 s[2:3], s[12:13], 3
	s_add_u32 s4, s4, s2
	v_or_b32_e32 v1, 1, v0
	s_addc_u32 s5, s5, s3
	v_cmp_gt_u32_e32 vcc, s8, v1
	s_and_saveexec_b64 s[2:3], vcc
	s_cbranch_execz .LBB136_3
; %bb.2:
	v_mov_b32_e32 v1, 0
	v_lshlrev_b64 v[1:2], 3, v[0:1]
	v_mov_b32_e32 v3, s5
	v_add_co_u32_e32 v8, vcc, s4, v1
	v_addc_co_u32_e32 v9, vcc, v3, v2, vcc
	global_load_dwordx4 v[1:4], v[8:9], off
	s_waitcnt vmcnt(0)
	v_mul_f32_e32 v6, s1, v2
	v_mul_f32_e32 v5, s0, v2
	;; [unrolled: 1-line block ×4, first 2 shown]
	v_fma_f32 v4, s0, v1, -v6
	v_fmac_f32_e32 v5, s1, v1
	v_fma_f32 v6, s0, v3, -v2
	v_fmac_f32_e32 v7, s1, v3
	global_store_dwordx4 v[8:9], v[4:7], off
.LBB136_3:
	s_or_b64 exec, exec, s[2:3]
	s_bitcmp1_b32 s8, 0
	s_cselect_b64 s[2:3], -1, 0
	s_add_i32 s8, s8, -1
	v_cmp_eq_u32_e32 vcc, s8, v0
	s_and_b64 s[2:3], s[2:3], vcc
	s_and_saveexec_b64 s[6:7], s[2:3]
	s_cbranch_execz .LBB136_5
; %bb.4:
	v_mov_b32_e32 v1, 0
	v_lshlrev_b64 v[0:1], 3, v[0:1]
	v_mov_b32_e32 v2, s5
	v_add_co_u32_e32 v0, vcc, s4, v0
	v_addc_co_u32_e32 v1, vcc, v2, v1, vcc
	global_load_dwordx2 v[2:3], v[0:1], off
	s_waitcnt vmcnt(0)
	v_mul_f32_e32 v5, s1, v3
	v_mul_f32_e32 v4, s0, v3
	v_fma_f32 v3, s0, v2, -v5
	v_fmac_f32_e32 v4, s1, v2
	global_store_dwordx2 v[0:1], v[3:4], off
.LBB136_5:
	s_endpgm
	.section	.rodata,"a",@progbits
	.p2align	6, 0x0
	.amdhsa_kernel _ZL22rocblas_sscal_2_kernelILi256E19rocblas_complex_numIfES1_PKS1_PS1_EviT2_lT3_lli
		.amdhsa_group_segment_fixed_size 0
		.amdhsa_private_segment_fixed_size 0
		.amdhsa_kernarg_size 52
		.amdhsa_user_sgpr_count 6
		.amdhsa_user_sgpr_private_segment_buffer 1
		.amdhsa_user_sgpr_dispatch_ptr 0
		.amdhsa_user_sgpr_queue_ptr 0
		.amdhsa_user_sgpr_kernarg_segment_ptr 1
		.amdhsa_user_sgpr_dispatch_id 0
		.amdhsa_user_sgpr_flat_scratch_init 0
		.amdhsa_user_sgpr_private_segment_size 0
		.amdhsa_uses_dynamic_stack 0
		.amdhsa_system_sgpr_private_segment_wavefront_offset 0
		.amdhsa_system_sgpr_workgroup_id_x 1
		.amdhsa_system_sgpr_workgroup_id_y 0
		.amdhsa_system_sgpr_workgroup_id_z 1
		.amdhsa_system_sgpr_workgroup_info 0
		.amdhsa_system_vgpr_workitem_id 0
		.amdhsa_next_free_vgpr 10
		.amdhsa_next_free_sgpr 16
		.amdhsa_reserve_vcc 1
		.amdhsa_reserve_flat_scratch 0
		.amdhsa_float_round_mode_32 0
		.amdhsa_float_round_mode_16_64 0
		.amdhsa_float_denorm_mode_32 3
		.amdhsa_float_denorm_mode_16_64 3
		.amdhsa_dx10_clamp 1
		.amdhsa_ieee_mode 1
		.amdhsa_fp16_overflow 0
		.amdhsa_exception_fp_ieee_invalid_op 0
		.amdhsa_exception_fp_denorm_src 0
		.amdhsa_exception_fp_ieee_div_zero 0
		.amdhsa_exception_fp_ieee_overflow 0
		.amdhsa_exception_fp_ieee_underflow 0
		.amdhsa_exception_fp_ieee_inexact 0
		.amdhsa_exception_int_div_zero 0
	.end_amdhsa_kernel
	.section	.text._ZL22rocblas_sscal_2_kernelILi256E19rocblas_complex_numIfES1_PKS1_PS1_EviT2_lT3_lli,"axG",@progbits,_ZL22rocblas_sscal_2_kernelILi256E19rocblas_complex_numIfES1_PKS1_PS1_EviT2_lT3_lli,comdat
.Lfunc_end136:
	.size	_ZL22rocblas_sscal_2_kernelILi256E19rocblas_complex_numIfES1_PKS1_PS1_EviT2_lT3_lli, .Lfunc_end136-_ZL22rocblas_sscal_2_kernelILi256E19rocblas_complex_numIfES1_PKS1_PS1_EviT2_lT3_lli
                                        ; -- End function
	.set _ZL22rocblas_sscal_2_kernelILi256E19rocblas_complex_numIfES1_PKS1_PS1_EviT2_lT3_lli.num_vgpr, 10
	.set _ZL22rocblas_sscal_2_kernelILi256E19rocblas_complex_numIfES1_PKS1_PS1_EviT2_lT3_lli.num_agpr, 0
	.set _ZL22rocblas_sscal_2_kernelILi256E19rocblas_complex_numIfES1_PKS1_PS1_EviT2_lT3_lli.numbered_sgpr, 16
	.set _ZL22rocblas_sscal_2_kernelILi256E19rocblas_complex_numIfES1_PKS1_PS1_EviT2_lT3_lli.num_named_barrier, 0
	.set _ZL22rocblas_sscal_2_kernelILi256E19rocblas_complex_numIfES1_PKS1_PS1_EviT2_lT3_lli.private_seg_size, 0
	.set _ZL22rocblas_sscal_2_kernelILi256E19rocblas_complex_numIfES1_PKS1_PS1_EviT2_lT3_lli.uses_vcc, 1
	.set _ZL22rocblas_sscal_2_kernelILi256E19rocblas_complex_numIfES1_PKS1_PS1_EviT2_lT3_lli.uses_flat_scratch, 0
	.set _ZL22rocblas_sscal_2_kernelILi256E19rocblas_complex_numIfES1_PKS1_PS1_EviT2_lT3_lli.has_dyn_sized_stack, 0
	.set _ZL22rocblas_sscal_2_kernelILi256E19rocblas_complex_numIfES1_PKS1_PS1_EviT2_lT3_lli.has_recursion, 0
	.set _ZL22rocblas_sscal_2_kernelILi256E19rocblas_complex_numIfES1_PKS1_PS1_EviT2_lT3_lli.has_indirect_call, 0
	.section	.AMDGPU.csdata,"",@progbits
; Kernel info:
; codeLenInByte = 360
; TotalNumSgprs: 20
; NumVgprs: 10
; ScratchSize: 0
; MemoryBound: 0
; FloatMode: 240
; IeeeMode: 1
; LDSByteSize: 0 bytes/workgroup (compile time only)
; SGPRBlocks: 2
; VGPRBlocks: 2
; NumSGPRsForWavesPerEU: 20
; NumVGPRsForWavesPerEU: 10
; Occupancy: 10
; WaveLimiterHint : 0
; COMPUTE_PGM_RSRC2:SCRATCH_EN: 0
; COMPUTE_PGM_RSRC2:USER_SGPR: 6
; COMPUTE_PGM_RSRC2:TRAP_HANDLER: 0
; COMPUTE_PGM_RSRC2:TGID_X_EN: 1
; COMPUTE_PGM_RSRC2:TGID_Y_EN: 0
; COMPUTE_PGM_RSRC2:TGID_Z_EN: 1
; COMPUTE_PGM_RSRC2:TIDIG_COMP_CNT: 0
	.section	.text._ZL22rocblas_sscal_2_kernelILi256E19rocblas_complex_numIfES1_S1_PS1_EviT2_lT3_lli,"axG",@progbits,_ZL22rocblas_sscal_2_kernelILi256E19rocblas_complex_numIfES1_S1_PS1_EviT2_lT3_lli,comdat
	.globl	_ZL22rocblas_sscal_2_kernelILi256E19rocblas_complex_numIfES1_S1_PS1_EviT2_lT3_lli ; -- Begin function _ZL22rocblas_sscal_2_kernelILi256E19rocblas_complex_numIfES1_S1_PS1_EviT2_lT3_lli
	.p2align	8
	.type	_ZL22rocblas_sscal_2_kernelILi256E19rocblas_complex_numIfES1_S1_PS1_EviT2_lT3_lli,@function
_ZL22rocblas_sscal_2_kernelILi256E19rocblas_complex_numIfES1_S1_PS1_EviT2_lT3_lli: ; @_ZL22rocblas_sscal_2_kernelILi256E19rocblas_complex_numIfES1_S1_PS1_EviT2_lT3_lli
; %bb.0:
	s_load_dwordx4 s[0:3], s[4:5], 0x0
	s_waitcnt lgkmcnt(0)
	v_cmp_neq_f32_e64 s[8:9], s1, 1.0
	v_cmp_neq_f32_e64 s[10:11], s2, 0
	s_or_b64 s[8:9], s[8:9], s[10:11]
	s_andn2_b64 vcc, exec, s[8:9]
	s_cbranch_vccnz .LBB137_5
; %bb.1:
	s_load_dwordx4 s[8:11], s[4:5], 0x20
	s_load_dwordx2 s[12:13], s[4:5], 0x18
	v_lshlrev_b32_e32 v0, 1, v0
	v_lshl_or_b32 v0, s6, 9, v0
	v_or_b32_e32 v1, 1, v0
	s_waitcnt lgkmcnt(0)
	s_mul_i32 s3, s11, s7
	s_mul_hi_u32 s4, s10, s7
	s_add_i32 s5, s4, s3
	s_mul_i32 s4, s10, s7
	s_lshl_b64 s[4:5], s[4:5], 3
	s_add_u32 s3, s12, s4
	s_addc_u32 s6, s13, s5
	s_lshl_b64 s[4:5], s[8:9], 3
	s_add_u32 s3, s3, s4
	s_addc_u32 s6, s6, s5
	v_cmp_gt_u32_e32 vcc, s0, v1
	s_and_saveexec_b64 s[4:5], vcc
	s_cbranch_execz .LBB137_3
; %bb.2:
	v_mov_b32_e32 v1, 0
	v_lshlrev_b64 v[1:2], 3, v[0:1]
	v_mov_b32_e32 v3, s6
	v_add_co_u32_e32 v8, vcc, s3, v1
	v_addc_co_u32_e32 v9, vcc, v3, v2, vcc
	global_load_dwordx4 v[1:4], v[8:9], off
	s_waitcnt vmcnt(0)
	v_mul_f32_e32 v6, s2, v2
	v_mul_f32_e32 v5, s1, v2
	;; [unrolled: 1-line block ×4, first 2 shown]
	v_fma_f32 v4, s1, v1, -v6
	v_fmac_f32_e32 v5, s2, v1
	v_fma_f32 v6, s1, v3, -v2
	v_fmac_f32_e32 v7, s2, v3
	global_store_dwordx4 v[8:9], v[4:7], off
.LBB137_3:
	s_or_b64 exec, exec, s[4:5]
	s_bitcmp1_b32 s0, 0
	s_cselect_b64 s[4:5], -1, 0
	s_add_i32 s0, s0, -1
	v_cmp_eq_u32_e32 vcc, s0, v0
	s_and_b64 s[4:5], s[4:5], vcc
	s_and_saveexec_b64 s[8:9], s[4:5]
	s_cbranch_execz .LBB137_5
; %bb.4:
	v_mov_b32_e32 v1, 0
	v_lshlrev_b64 v[0:1], 3, v[0:1]
	v_mov_b32_e32 v2, s6
	v_add_co_u32_e32 v0, vcc, s3, v0
	v_addc_co_u32_e32 v1, vcc, v2, v1, vcc
	global_load_dwordx2 v[2:3], v[0:1], off
	s_waitcnt vmcnt(0)
	v_mul_f32_e32 v5, s2, v3
	v_mul_f32_e32 v4, s1, v3
	v_fma_f32 v3, s1, v2, -v5
	v_fmac_f32_e32 v4, s2, v2
	global_store_dwordx2 v[0:1], v[3:4], off
.LBB137_5:
	s_endpgm
	.section	.rodata,"a",@progbits
	.p2align	6, 0x0
	.amdhsa_kernel _ZL22rocblas_sscal_2_kernelILi256E19rocblas_complex_numIfES1_S1_PS1_EviT2_lT3_lli
		.amdhsa_group_segment_fixed_size 0
		.amdhsa_private_segment_fixed_size 0
		.amdhsa_kernarg_size 52
		.amdhsa_user_sgpr_count 6
		.amdhsa_user_sgpr_private_segment_buffer 1
		.amdhsa_user_sgpr_dispatch_ptr 0
		.amdhsa_user_sgpr_queue_ptr 0
		.amdhsa_user_sgpr_kernarg_segment_ptr 1
		.amdhsa_user_sgpr_dispatch_id 0
		.amdhsa_user_sgpr_flat_scratch_init 0
		.amdhsa_user_sgpr_private_segment_size 0
		.amdhsa_uses_dynamic_stack 0
		.amdhsa_system_sgpr_private_segment_wavefront_offset 0
		.amdhsa_system_sgpr_workgroup_id_x 1
		.amdhsa_system_sgpr_workgroup_id_y 0
		.amdhsa_system_sgpr_workgroup_id_z 1
		.amdhsa_system_sgpr_workgroup_info 0
		.amdhsa_system_vgpr_workitem_id 0
		.amdhsa_next_free_vgpr 10
		.amdhsa_next_free_sgpr 14
		.amdhsa_reserve_vcc 1
		.amdhsa_reserve_flat_scratch 0
		.amdhsa_float_round_mode_32 0
		.amdhsa_float_round_mode_16_64 0
		.amdhsa_float_denorm_mode_32 3
		.amdhsa_float_denorm_mode_16_64 3
		.amdhsa_dx10_clamp 1
		.amdhsa_ieee_mode 1
		.amdhsa_fp16_overflow 0
		.amdhsa_exception_fp_ieee_invalid_op 0
		.amdhsa_exception_fp_denorm_src 0
		.amdhsa_exception_fp_ieee_div_zero 0
		.amdhsa_exception_fp_ieee_overflow 0
		.amdhsa_exception_fp_ieee_underflow 0
		.amdhsa_exception_fp_ieee_inexact 0
		.amdhsa_exception_int_div_zero 0
	.end_amdhsa_kernel
	.section	.text._ZL22rocblas_sscal_2_kernelILi256E19rocblas_complex_numIfES1_S1_PS1_EviT2_lT3_lli,"axG",@progbits,_ZL22rocblas_sscal_2_kernelILi256E19rocblas_complex_numIfES1_S1_PS1_EviT2_lT3_lli,comdat
.Lfunc_end137:
	.size	_ZL22rocblas_sscal_2_kernelILi256E19rocblas_complex_numIfES1_S1_PS1_EviT2_lT3_lli, .Lfunc_end137-_ZL22rocblas_sscal_2_kernelILi256E19rocblas_complex_numIfES1_S1_PS1_EviT2_lT3_lli
                                        ; -- End function
	.set _ZL22rocblas_sscal_2_kernelILi256E19rocblas_complex_numIfES1_S1_PS1_EviT2_lT3_lli.num_vgpr, 10
	.set _ZL22rocblas_sscal_2_kernelILi256E19rocblas_complex_numIfES1_S1_PS1_EviT2_lT3_lli.num_agpr, 0
	.set _ZL22rocblas_sscal_2_kernelILi256E19rocblas_complex_numIfES1_S1_PS1_EviT2_lT3_lli.numbered_sgpr, 14
	.set _ZL22rocblas_sscal_2_kernelILi256E19rocblas_complex_numIfES1_S1_PS1_EviT2_lT3_lli.num_named_barrier, 0
	.set _ZL22rocblas_sscal_2_kernelILi256E19rocblas_complex_numIfES1_S1_PS1_EviT2_lT3_lli.private_seg_size, 0
	.set _ZL22rocblas_sscal_2_kernelILi256E19rocblas_complex_numIfES1_S1_PS1_EviT2_lT3_lli.uses_vcc, 1
	.set _ZL22rocblas_sscal_2_kernelILi256E19rocblas_complex_numIfES1_S1_PS1_EviT2_lT3_lli.uses_flat_scratch, 0
	.set _ZL22rocblas_sscal_2_kernelILi256E19rocblas_complex_numIfES1_S1_PS1_EviT2_lT3_lli.has_dyn_sized_stack, 0
	.set _ZL22rocblas_sscal_2_kernelILi256E19rocblas_complex_numIfES1_S1_PS1_EviT2_lT3_lli.has_recursion, 0
	.set _ZL22rocblas_sscal_2_kernelILi256E19rocblas_complex_numIfES1_S1_PS1_EviT2_lT3_lli.has_indirect_call, 0
	.section	.AMDGPU.csdata,"",@progbits
; Kernel info:
; codeLenInByte = 312
; TotalNumSgprs: 18
; NumVgprs: 10
; ScratchSize: 0
; MemoryBound: 0
; FloatMode: 240
; IeeeMode: 1
; LDSByteSize: 0 bytes/workgroup (compile time only)
; SGPRBlocks: 2
; VGPRBlocks: 2
; NumSGPRsForWavesPerEU: 18
; NumVGPRsForWavesPerEU: 10
; Occupancy: 10
; WaveLimiterHint : 0
; COMPUTE_PGM_RSRC2:SCRATCH_EN: 0
; COMPUTE_PGM_RSRC2:USER_SGPR: 6
; COMPUTE_PGM_RSRC2:TRAP_HANDLER: 0
; COMPUTE_PGM_RSRC2:TGID_X_EN: 1
; COMPUTE_PGM_RSRC2:TGID_Y_EN: 0
; COMPUTE_PGM_RSRC2:TGID_Z_EN: 1
; COMPUTE_PGM_RSRC2:TIDIG_COMP_CNT: 0
	.section	.text._ZL19rocblas_scal_kernelIiLi256E19rocblas_complex_numIfES1_PKS1_PS1_EviT3_lT4_lT_li,"axG",@progbits,_ZL19rocblas_scal_kernelIiLi256E19rocblas_complex_numIfES1_PKS1_PS1_EviT3_lT4_lT_li,comdat
	.globl	_ZL19rocblas_scal_kernelIiLi256E19rocblas_complex_numIfES1_PKS1_PS1_EviT3_lT4_lT_li ; -- Begin function _ZL19rocblas_scal_kernelIiLi256E19rocblas_complex_numIfES1_PKS1_PS1_EviT3_lT4_lT_li
	.p2align	8
	.type	_ZL19rocblas_scal_kernelIiLi256E19rocblas_complex_numIfES1_PKS1_PS1_EviT3_lT4_lT_li,@function
_ZL19rocblas_scal_kernelIiLi256E19rocblas_complex_numIfES1_PKS1_PS1_EviT3_lT4_lT_li: ; @_ZL19rocblas_scal_kernelIiLi256E19rocblas_complex_numIfES1_PKS1_PS1_EviT3_lT4_lT_li
; %bb.0:
	s_load_dwordx8 s[8:15], s[4:5], 0x8
	v_lshl_or_b32 v0, s6, 8, v0
	s_waitcnt lgkmcnt(0)
	s_mul_i32 s0, s11, s7
	s_mul_hi_u32 s1, s10, s7
	s_add_i32 s1, s1, s0
	s_mul_i32 s0, s10, s7
	s_lshl_b64 s[0:1], s[0:1], 3
	s_add_u32 s2, s8, s0
	s_addc_u32 s3, s9, s1
	s_load_dwordx2 s[0:1], s[2:3], 0x0
	s_load_dword s10, s[4:5], 0x0
	s_waitcnt lgkmcnt(0)
	v_cmp_neq_f32_e64 s[2:3], s0, 1.0
	v_cmp_neq_f32_e64 s[8:9], s1, 0
	s_or_b64 s[2:3], s[2:3], s[8:9]
	v_cmp_gt_u32_e32 vcc, s10, v0
	s_and_b64 s[2:3], vcc, s[2:3]
	s_and_saveexec_b64 s[8:9], s[2:3]
	s_cbranch_execz .LBB138_2
; %bb.1:
	s_load_dword s6, s[4:5], 0x28
	s_load_dwordx2 s[2:3], s[4:5], 0x30
	s_waitcnt lgkmcnt(0)
	s_ashr_i32 s8, s6, 31
	s_mul_i32 s3, s3, s7
	s_mul_hi_u32 s4, s2, s7
	s_add_i32 s3, s4, s3
	v_mad_u64_u32 v[1:2], s[4:5], s6, v0, 0
	s_mul_i32 s2, s2, s7
	s_lshl_b64 s[2:3], s[2:3], 3
	s_add_u32 s4, s12, s2
	s_addc_u32 s5, s13, s3
	v_mad_u64_u32 v[2:3], s[2:3], s8, v0, v[2:3]
	s_lshl_b64 s[2:3], s[14:15], 3
	s_add_u32 s2, s4, s2
	v_lshlrev_b64 v[0:1], 3, v[1:2]
	s_addc_u32 s3, s5, s3
	v_mov_b32_e32 v2, s3
	v_add_co_u32_e32 v0, vcc, s2, v0
	v_addc_co_u32_e32 v1, vcc, v2, v1, vcc
	global_load_dwordx2 v[2:3], v[0:1], off
	s_waitcnt vmcnt(0)
	v_mul_f32_e32 v5, s1, v3
	v_mul_f32_e32 v4, s0, v3
	v_fma_f32 v3, s0, v2, -v5
	v_fmac_f32_e32 v4, s1, v2
	global_store_dwordx2 v[0:1], v[3:4], off
.LBB138_2:
	s_endpgm
	.section	.rodata,"a",@progbits
	.p2align	6, 0x0
	.amdhsa_kernel _ZL19rocblas_scal_kernelIiLi256E19rocblas_complex_numIfES1_PKS1_PS1_EviT3_lT4_lT_li
		.amdhsa_group_segment_fixed_size 0
		.amdhsa_private_segment_fixed_size 0
		.amdhsa_kernarg_size 60
		.amdhsa_user_sgpr_count 6
		.amdhsa_user_sgpr_private_segment_buffer 1
		.amdhsa_user_sgpr_dispatch_ptr 0
		.amdhsa_user_sgpr_queue_ptr 0
		.amdhsa_user_sgpr_kernarg_segment_ptr 1
		.amdhsa_user_sgpr_dispatch_id 0
		.amdhsa_user_sgpr_flat_scratch_init 0
		.amdhsa_user_sgpr_private_segment_size 0
		.amdhsa_uses_dynamic_stack 0
		.amdhsa_system_sgpr_private_segment_wavefront_offset 0
		.amdhsa_system_sgpr_workgroup_id_x 1
		.amdhsa_system_sgpr_workgroup_id_y 0
		.amdhsa_system_sgpr_workgroup_id_z 1
		.amdhsa_system_sgpr_workgroup_info 0
		.amdhsa_system_vgpr_workitem_id 0
		.amdhsa_next_free_vgpr 6
		.amdhsa_next_free_sgpr 16
		.amdhsa_reserve_vcc 1
		.amdhsa_reserve_flat_scratch 0
		.amdhsa_float_round_mode_32 0
		.amdhsa_float_round_mode_16_64 0
		.amdhsa_float_denorm_mode_32 3
		.amdhsa_float_denorm_mode_16_64 3
		.amdhsa_dx10_clamp 1
		.amdhsa_ieee_mode 1
		.amdhsa_fp16_overflow 0
		.amdhsa_exception_fp_ieee_invalid_op 0
		.amdhsa_exception_fp_denorm_src 0
		.amdhsa_exception_fp_ieee_div_zero 0
		.amdhsa_exception_fp_ieee_overflow 0
		.amdhsa_exception_fp_ieee_underflow 0
		.amdhsa_exception_fp_ieee_inexact 0
		.amdhsa_exception_int_div_zero 0
	.end_amdhsa_kernel
	.section	.text._ZL19rocblas_scal_kernelIiLi256E19rocblas_complex_numIfES1_PKS1_PS1_EviT3_lT4_lT_li,"axG",@progbits,_ZL19rocblas_scal_kernelIiLi256E19rocblas_complex_numIfES1_PKS1_PS1_EviT3_lT4_lT_li,comdat
.Lfunc_end138:
	.size	_ZL19rocblas_scal_kernelIiLi256E19rocblas_complex_numIfES1_PKS1_PS1_EviT3_lT4_lT_li, .Lfunc_end138-_ZL19rocblas_scal_kernelIiLi256E19rocblas_complex_numIfES1_PKS1_PS1_EviT3_lT4_lT_li
                                        ; -- End function
	.set _ZL19rocblas_scal_kernelIiLi256E19rocblas_complex_numIfES1_PKS1_PS1_EviT3_lT4_lT_li.num_vgpr, 6
	.set _ZL19rocblas_scal_kernelIiLi256E19rocblas_complex_numIfES1_PKS1_PS1_EviT3_lT4_lT_li.num_agpr, 0
	.set _ZL19rocblas_scal_kernelIiLi256E19rocblas_complex_numIfES1_PKS1_PS1_EviT3_lT4_lT_li.numbered_sgpr, 16
	.set _ZL19rocblas_scal_kernelIiLi256E19rocblas_complex_numIfES1_PKS1_PS1_EviT3_lT4_lT_li.num_named_barrier, 0
	.set _ZL19rocblas_scal_kernelIiLi256E19rocblas_complex_numIfES1_PKS1_PS1_EviT3_lT4_lT_li.private_seg_size, 0
	.set _ZL19rocblas_scal_kernelIiLi256E19rocblas_complex_numIfES1_PKS1_PS1_EviT3_lT4_lT_li.uses_vcc, 1
	.set _ZL19rocblas_scal_kernelIiLi256E19rocblas_complex_numIfES1_PKS1_PS1_EviT3_lT4_lT_li.uses_flat_scratch, 0
	.set _ZL19rocblas_scal_kernelIiLi256E19rocblas_complex_numIfES1_PKS1_PS1_EviT3_lT4_lT_li.has_dyn_sized_stack, 0
	.set _ZL19rocblas_scal_kernelIiLi256E19rocblas_complex_numIfES1_PKS1_PS1_EviT3_lT4_lT_li.has_recursion, 0
	.set _ZL19rocblas_scal_kernelIiLi256E19rocblas_complex_numIfES1_PKS1_PS1_EviT3_lT4_lT_li.has_indirect_call, 0
	.section	.AMDGPU.csdata,"",@progbits
; Kernel info:
; codeLenInByte = 248
; TotalNumSgprs: 20
; NumVgprs: 6
; ScratchSize: 0
; MemoryBound: 0
; FloatMode: 240
; IeeeMode: 1
; LDSByteSize: 0 bytes/workgroup (compile time only)
; SGPRBlocks: 2
; VGPRBlocks: 1
; NumSGPRsForWavesPerEU: 20
; NumVGPRsForWavesPerEU: 6
; Occupancy: 10
; WaveLimiterHint : 0
; COMPUTE_PGM_RSRC2:SCRATCH_EN: 0
; COMPUTE_PGM_RSRC2:USER_SGPR: 6
; COMPUTE_PGM_RSRC2:TRAP_HANDLER: 0
; COMPUTE_PGM_RSRC2:TGID_X_EN: 1
; COMPUTE_PGM_RSRC2:TGID_Y_EN: 0
; COMPUTE_PGM_RSRC2:TGID_Z_EN: 1
; COMPUTE_PGM_RSRC2:TIDIG_COMP_CNT: 0
	.section	.text._ZL19rocblas_scal_kernelIiLi256E19rocblas_complex_numIfES1_S1_PS1_EviT3_lT4_lT_li,"axG",@progbits,_ZL19rocblas_scal_kernelIiLi256E19rocblas_complex_numIfES1_S1_PS1_EviT3_lT4_lT_li,comdat
	.globl	_ZL19rocblas_scal_kernelIiLi256E19rocblas_complex_numIfES1_S1_PS1_EviT3_lT4_lT_li ; -- Begin function _ZL19rocblas_scal_kernelIiLi256E19rocblas_complex_numIfES1_S1_PS1_EviT3_lT4_lT_li
	.p2align	8
	.type	_ZL19rocblas_scal_kernelIiLi256E19rocblas_complex_numIfES1_S1_PS1_EviT3_lT4_lT_li,@function
_ZL19rocblas_scal_kernelIiLi256E19rocblas_complex_numIfES1_S1_PS1_EviT3_lT4_lT_li: ; @_ZL19rocblas_scal_kernelIiLi256E19rocblas_complex_numIfES1_S1_PS1_EviT3_lT4_lT_li
; %bb.0:
	s_load_dwordx4 s[0:3], s[4:5], 0x0
	v_lshl_or_b32 v0, s6, 8, v0
	s_waitcnt lgkmcnt(0)
	v_cmp_neq_f32_e64 s[8:9], s1, 1.0
	v_cmp_neq_f32_e64 s[10:11], s2, 0
	s_or_b64 s[8:9], s[8:9], s[10:11]
	v_cmp_gt_u32_e32 vcc, s0, v0
	s_and_b64 s[8:9], vcc, s[8:9]
	s_and_saveexec_b64 s[10:11], s[8:9]
	s_cbranch_execz .LBB139_2
; %bb.1:
	s_load_dword s0, s[4:5], 0x28
	s_load_dwordx2 s[12:13], s[4:5], 0x30
	s_load_dwordx4 s[8:11], s[4:5], 0x18
	s_waitcnt lgkmcnt(0)
	s_ashr_i32 s3, s0, 31
	s_mul_i32 s4, s13, s7
	s_mul_hi_u32 s5, s12, s7
	s_add_i32 s5, s5, s4
	s_mul_i32 s4, s12, s7
	v_mad_u64_u32 v[1:2], s[6:7], s0, v0, 0
	s_lshl_b64 s[4:5], s[4:5], 3
	s_add_u32 s0, s8, s4
	s_addc_u32 s6, s9, s5
	v_mad_u64_u32 v[2:3], s[4:5], s3, v0, v[2:3]
	s_lshl_b64 s[4:5], s[10:11], 3
	s_add_u32 s0, s0, s4
	v_lshlrev_b64 v[0:1], 3, v[1:2]
	s_addc_u32 s3, s6, s5
	v_mov_b32_e32 v2, s3
	v_add_co_u32_e32 v0, vcc, s0, v0
	v_addc_co_u32_e32 v1, vcc, v2, v1, vcc
	global_load_dwordx2 v[2:3], v[0:1], off
	s_waitcnt vmcnt(0)
	v_mul_f32_e32 v5, s2, v3
	v_mul_f32_e32 v4, s1, v3
	v_fma_f32 v3, s1, v2, -v5
	v_fmac_f32_e32 v4, s2, v2
	global_store_dwordx2 v[0:1], v[3:4], off
.LBB139_2:
	s_endpgm
	.section	.rodata,"a",@progbits
	.p2align	6, 0x0
	.amdhsa_kernel _ZL19rocblas_scal_kernelIiLi256E19rocblas_complex_numIfES1_S1_PS1_EviT3_lT4_lT_li
		.amdhsa_group_segment_fixed_size 0
		.amdhsa_private_segment_fixed_size 0
		.amdhsa_kernarg_size 60
		.amdhsa_user_sgpr_count 6
		.amdhsa_user_sgpr_private_segment_buffer 1
		.amdhsa_user_sgpr_dispatch_ptr 0
		.amdhsa_user_sgpr_queue_ptr 0
		.amdhsa_user_sgpr_kernarg_segment_ptr 1
		.amdhsa_user_sgpr_dispatch_id 0
		.amdhsa_user_sgpr_flat_scratch_init 0
		.amdhsa_user_sgpr_private_segment_size 0
		.amdhsa_uses_dynamic_stack 0
		.amdhsa_system_sgpr_private_segment_wavefront_offset 0
		.amdhsa_system_sgpr_workgroup_id_x 1
		.amdhsa_system_sgpr_workgroup_id_y 0
		.amdhsa_system_sgpr_workgroup_id_z 1
		.amdhsa_system_sgpr_workgroup_info 0
		.amdhsa_system_vgpr_workitem_id 0
		.amdhsa_next_free_vgpr 6
		.amdhsa_next_free_sgpr 14
		.amdhsa_reserve_vcc 1
		.amdhsa_reserve_flat_scratch 0
		.amdhsa_float_round_mode_32 0
		.amdhsa_float_round_mode_16_64 0
		.amdhsa_float_denorm_mode_32 3
		.amdhsa_float_denorm_mode_16_64 3
		.amdhsa_dx10_clamp 1
		.amdhsa_ieee_mode 1
		.amdhsa_fp16_overflow 0
		.amdhsa_exception_fp_ieee_invalid_op 0
		.amdhsa_exception_fp_denorm_src 0
		.amdhsa_exception_fp_ieee_div_zero 0
		.amdhsa_exception_fp_ieee_overflow 0
		.amdhsa_exception_fp_ieee_underflow 0
		.amdhsa_exception_fp_ieee_inexact 0
		.amdhsa_exception_int_div_zero 0
	.end_amdhsa_kernel
	.section	.text._ZL19rocblas_scal_kernelIiLi256E19rocblas_complex_numIfES1_S1_PS1_EviT3_lT4_lT_li,"axG",@progbits,_ZL19rocblas_scal_kernelIiLi256E19rocblas_complex_numIfES1_S1_PS1_EviT3_lT4_lT_li,comdat
.Lfunc_end139:
	.size	_ZL19rocblas_scal_kernelIiLi256E19rocblas_complex_numIfES1_S1_PS1_EviT3_lT4_lT_li, .Lfunc_end139-_ZL19rocblas_scal_kernelIiLi256E19rocblas_complex_numIfES1_S1_PS1_EviT3_lT4_lT_li
                                        ; -- End function
	.set _ZL19rocblas_scal_kernelIiLi256E19rocblas_complex_numIfES1_S1_PS1_EviT3_lT4_lT_li.num_vgpr, 6
	.set _ZL19rocblas_scal_kernelIiLi256E19rocblas_complex_numIfES1_S1_PS1_EviT3_lT4_lT_li.num_agpr, 0
	.set _ZL19rocblas_scal_kernelIiLi256E19rocblas_complex_numIfES1_S1_PS1_EviT3_lT4_lT_li.numbered_sgpr, 14
	.set _ZL19rocblas_scal_kernelIiLi256E19rocblas_complex_numIfES1_S1_PS1_EviT3_lT4_lT_li.num_named_barrier, 0
	.set _ZL19rocblas_scal_kernelIiLi256E19rocblas_complex_numIfES1_S1_PS1_EviT3_lT4_lT_li.private_seg_size, 0
	.set _ZL19rocblas_scal_kernelIiLi256E19rocblas_complex_numIfES1_S1_PS1_EviT3_lT4_lT_li.uses_vcc, 1
	.set _ZL19rocblas_scal_kernelIiLi256E19rocblas_complex_numIfES1_S1_PS1_EviT3_lT4_lT_li.uses_flat_scratch, 0
	.set _ZL19rocblas_scal_kernelIiLi256E19rocblas_complex_numIfES1_S1_PS1_EviT3_lT4_lT_li.has_dyn_sized_stack, 0
	.set _ZL19rocblas_scal_kernelIiLi256E19rocblas_complex_numIfES1_S1_PS1_EviT3_lT4_lT_li.has_recursion, 0
	.set _ZL19rocblas_scal_kernelIiLi256E19rocblas_complex_numIfES1_S1_PS1_EviT3_lT4_lT_li.has_indirect_call, 0
	.section	.AMDGPU.csdata,"",@progbits
; Kernel info:
; codeLenInByte = 208
; TotalNumSgprs: 18
; NumVgprs: 6
; ScratchSize: 0
; MemoryBound: 0
; FloatMode: 240
; IeeeMode: 1
; LDSByteSize: 0 bytes/workgroup (compile time only)
; SGPRBlocks: 2
; VGPRBlocks: 1
; NumSGPRsForWavesPerEU: 18
; NumVGPRsForWavesPerEU: 6
; Occupancy: 10
; WaveLimiterHint : 0
; COMPUTE_PGM_RSRC2:SCRATCH_EN: 0
; COMPUTE_PGM_RSRC2:USER_SGPR: 6
; COMPUTE_PGM_RSRC2:TRAP_HANDLER: 0
; COMPUTE_PGM_RSRC2:TGID_X_EN: 1
; COMPUTE_PGM_RSRC2:TGID_Y_EN: 0
; COMPUTE_PGM_RSRC2:TGID_Z_EN: 1
; COMPUTE_PGM_RSRC2:TIDIG_COMP_CNT: 0
	.section	.text._ZL19rocblas_scal_kernelIlLi256E19rocblas_complex_numIfES1_PKS1_PS1_EviT3_lT4_lT_li,"axG",@progbits,_ZL19rocblas_scal_kernelIlLi256E19rocblas_complex_numIfES1_PKS1_PS1_EviT3_lT4_lT_li,comdat
	.globl	_ZL19rocblas_scal_kernelIlLi256E19rocblas_complex_numIfES1_PKS1_PS1_EviT3_lT4_lT_li ; -- Begin function _ZL19rocblas_scal_kernelIlLi256E19rocblas_complex_numIfES1_PKS1_PS1_EviT3_lT4_lT_li
	.p2align	8
	.type	_ZL19rocblas_scal_kernelIlLi256E19rocblas_complex_numIfES1_PKS1_PS1_EviT3_lT4_lT_li,@function
_ZL19rocblas_scal_kernelIlLi256E19rocblas_complex_numIfES1_PKS1_PS1_EviT3_lT4_lT_li: ; @_ZL19rocblas_scal_kernelIlLi256E19rocblas_complex_numIfES1_PKS1_PS1_EviT3_lT4_lT_li
; %bb.0:
	s_load_dwordx8 s[8:15], s[4:5], 0x8
	v_lshl_or_b32 v0, s6, 8, v0
	s_waitcnt lgkmcnt(0)
	s_mul_i32 s0, s11, s7
	s_mul_hi_u32 s1, s10, s7
	s_add_i32 s1, s1, s0
	s_mul_i32 s0, s10, s7
	s_lshl_b64 s[0:1], s[0:1], 3
	s_add_u32 s2, s8, s0
	s_addc_u32 s3, s9, s1
	s_load_dwordx2 s[0:1], s[2:3], 0x0
	s_load_dword s10, s[4:5], 0x0
	s_waitcnt lgkmcnt(0)
	v_cmp_neq_f32_e64 s[2:3], s0, 1.0
	v_cmp_neq_f32_e64 s[8:9], s1, 0
	s_or_b64 s[2:3], s[2:3], s[8:9]
	v_cmp_gt_u32_e32 vcc, s10, v0
	s_and_b64 s[2:3], vcc, s[2:3]
	s_and_saveexec_b64 s[8:9], s[2:3]
	s_cbranch_execz .LBB140_2
; %bb.1:
	s_load_dwordx4 s[8:11], s[4:5], 0x28
	s_waitcnt lgkmcnt(0)
	s_mul_i32 s3, s11, s7
	s_mul_hi_u32 s6, s10, s7
	v_mad_u64_u32 v[1:2], s[4:5], s8, v0, 0
	s_mul_i32 s2, s10, s7
	s_add_i32 s3, s6, s3
	s_lshl_b64 s[2:3], s[2:3], 3
	s_add_u32 s4, s12, s2
	s_addc_u32 s5, s13, s3
	v_mad_u64_u32 v[2:3], s[2:3], s9, v0, v[2:3]
	s_lshl_b64 s[2:3], s[14:15], 3
	s_add_u32 s2, s4, s2
	v_lshlrev_b64 v[0:1], 3, v[1:2]
	s_addc_u32 s3, s5, s3
	v_mov_b32_e32 v2, s3
	v_add_co_u32_e32 v0, vcc, s2, v0
	v_addc_co_u32_e32 v1, vcc, v2, v1, vcc
	global_load_dwordx2 v[2:3], v[0:1], off
	s_waitcnt vmcnt(0)
	v_mul_f32_e32 v5, s1, v3
	v_mul_f32_e32 v4, s0, v3
	v_fma_f32 v3, s0, v2, -v5
	v_fmac_f32_e32 v4, s1, v2
	global_store_dwordx2 v[0:1], v[3:4], off
.LBB140_2:
	s_endpgm
	.section	.rodata,"a",@progbits
	.p2align	6, 0x0
	.amdhsa_kernel _ZL19rocblas_scal_kernelIlLi256E19rocblas_complex_numIfES1_PKS1_PS1_EviT3_lT4_lT_li
		.amdhsa_group_segment_fixed_size 0
		.amdhsa_private_segment_fixed_size 0
		.amdhsa_kernarg_size 60
		.amdhsa_user_sgpr_count 6
		.amdhsa_user_sgpr_private_segment_buffer 1
		.amdhsa_user_sgpr_dispatch_ptr 0
		.amdhsa_user_sgpr_queue_ptr 0
		.amdhsa_user_sgpr_kernarg_segment_ptr 1
		.amdhsa_user_sgpr_dispatch_id 0
		.amdhsa_user_sgpr_flat_scratch_init 0
		.amdhsa_user_sgpr_private_segment_size 0
		.amdhsa_uses_dynamic_stack 0
		.amdhsa_system_sgpr_private_segment_wavefront_offset 0
		.amdhsa_system_sgpr_workgroup_id_x 1
		.amdhsa_system_sgpr_workgroup_id_y 0
		.amdhsa_system_sgpr_workgroup_id_z 1
		.amdhsa_system_sgpr_workgroup_info 0
		.amdhsa_system_vgpr_workitem_id 0
		.amdhsa_next_free_vgpr 6
		.amdhsa_next_free_sgpr 16
		.amdhsa_reserve_vcc 1
		.amdhsa_reserve_flat_scratch 0
		.amdhsa_float_round_mode_32 0
		.amdhsa_float_round_mode_16_64 0
		.amdhsa_float_denorm_mode_32 3
		.amdhsa_float_denorm_mode_16_64 3
		.amdhsa_dx10_clamp 1
		.amdhsa_ieee_mode 1
		.amdhsa_fp16_overflow 0
		.amdhsa_exception_fp_ieee_invalid_op 0
		.amdhsa_exception_fp_denorm_src 0
		.amdhsa_exception_fp_ieee_div_zero 0
		.amdhsa_exception_fp_ieee_overflow 0
		.amdhsa_exception_fp_ieee_underflow 0
		.amdhsa_exception_fp_ieee_inexact 0
		.amdhsa_exception_int_div_zero 0
	.end_amdhsa_kernel
	.section	.text._ZL19rocblas_scal_kernelIlLi256E19rocblas_complex_numIfES1_PKS1_PS1_EviT3_lT4_lT_li,"axG",@progbits,_ZL19rocblas_scal_kernelIlLi256E19rocblas_complex_numIfES1_PKS1_PS1_EviT3_lT4_lT_li,comdat
.Lfunc_end140:
	.size	_ZL19rocblas_scal_kernelIlLi256E19rocblas_complex_numIfES1_PKS1_PS1_EviT3_lT4_lT_li, .Lfunc_end140-_ZL19rocblas_scal_kernelIlLi256E19rocblas_complex_numIfES1_PKS1_PS1_EviT3_lT4_lT_li
                                        ; -- End function
	.set _ZL19rocblas_scal_kernelIlLi256E19rocblas_complex_numIfES1_PKS1_PS1_EviT3_lT4_lT_li.num_vgpr, 6
	.set _ZL19rocblas_scal_kernelIlLi256E19rocblas_complex_numIfES1_PKS1_PS1_EviT3_lT4_lT_li.num_agpr, 0
	.set _ZL19rocblas_scal_kernelIlLi256E19rocblas_complex_numIfES1_PKS1_PS1_EviT3_lT4_lT_li.numbered_sgpr, 16
	.set _ZL19rocblas_scal_kernelIlLi256E19rocblas_complex_numIfES1_PKS1_PS1_EviT3_lT4_lT_li.num_named_barrier, 0
	.set _ZL19rocblas_scal_kernelIlLi256E19rocblas_complex_numIfES1_PKS1_PS1_EviT3_lT4_lT_li.private_seg_size, 0
	.set _ZL19rocblas_scal_kernelIlLi256E19rocblas_complex_numIfES1_PKS1_PS1_EviT3_lT4_lT_li.uses_vcc, 1
	.set _ZL19rocblas_scal_kernelIlLi256E19rocblas_complex_numIfES1_PKS1_PS1_EviT3_lT4_lT_li.uses_flat_scratch, 0
	.set _ZL19rocblas_scal_kernelIlLi256E19rocblas_complex_numIfES1_PKS1_PS1_EviT3_lT4_lT_li.has_dyn_sized_stack, 0
	.set _ZL19rocblas_scal_kernelIlLi256E19rocblas_complex_numIfES1_PKS1_PS1_EviT3_lT4_lT_li.has_recursion, 0
	.set _ZL19rocblas_scal_kernelIlLi256E19rocblas_complex_numIfES1_PKS1_PS1_EviT3_lT4_lT_li.has_indirect_call, 0
	.section	.AMDGPU.csdata,"",@progbits
; Kernel info:
; codeLenInByte = 236
; TotalNumSgprs: 20
; NumVgprs: 6
; ScratchSize: 0
; MemoryBound: 0
; FloatMode: 240
; IeeeMode: 1
; LDSByteSize: 0 bytes/workgroup (compile time only)
; SGPRBlocks: 2
; VGPRBlocks: 1
; NumSGPRsForWavesPerEU: 20
; NumVGPRsForWavesPerEU: 6
; Occupancy: 10
; WaveLimiterHint : 0
; COMPUTE_PGM_RSRC2:SCRATCH_EN: 0
; COMPUTE_PGM_RSRC2:USER_SGPR: 6
; COMPUTE_PGM_RSRC2:TRAP_HANDLER: 0
; COMPUTE_PGM_RSRC2:TGID_X_EN: 1
; COMPUTE_PGM_RSRC2:TGID_Y_EN: 0
; COMPUTE_PGM_RSRC2:TGID_Z_EN: 1
; COMPUTE_PGM_RSRC2:TIDIG_COMP_CNT: 0
	.section	.text._ZL19rocblas_scal_kernelIlLi256E19rocblas_complex_numIfES1_S1_PS1_EviT3_lT4_lT_li,"axG",@progbits,_ZL19rocblas_scal_kernelIlLi256E19rocblas_complex_numIfES1_S1_PS1_EviT3_lT4_lT_li,comdat
	.globl	_ZL19rocblas_scal_kernelIlLi256E19rocblas_complex_numIfES1_S1_PS1_EviT3_lT4_lT_li ; -- Begin function _ZL19rocblas_scal_kernelIlLi256E19rocblas_complex_numIfES1_S1_PS1_EviT3_lT4_lT_li
	.p2align	8
	.type	_ZL19rocblas_scal_kernelIlLi256E19rocblas_complex_numIfES1_S1_PS1_EviT3_lT4_lT_li,@function
_ZL19rocblas_scal_kernelIlLi256E19rocblas_complex_numIfES1_S1_PS1_EviT3_lT4_lT_li: ; @_ZL19rocblas_scal_kernelIlLi256E19rocblas_complex_numIfES1_S1_PS1_EviT3_lT4_lT_li
; %bb.0:
	s_load_dwordx4 s[0:3], s[4:5], 0x0
	v_lshl_or_b32 v0, s6, 8, v0
	s_waitcnt lgkmcnt(0)
	v_cmp_neq_f32_e64 s[8:9], s1, 1.0
	v_cmp_neq_f32_e64 s[10:11], s2, 0
	s_or_b64 s[8:9], s[8:9], s[10:11]
	v_cmp_gt_u32_e32 vcc, s0, v0
	s_and_b64 s[8:9], vcc, s[8:9]
	s_and_saveexec_b64 s[10:11], s[8:9]
	s_cbranch_execz .LBB141_2
; %bb.1:
	s_load_dwordx8 s[8:15], s[4:5], 0x18
	s_waitcnt lgkmcnt(0)
	s_mul_i32 s0, s15, s7
	s_mul_hi_u32 s3, s14, s7
	s_mul_i32 s4, s14, s7
	v_mad_u64_u32 v[1:2], s[6:7], s12, v0, 0
	s_add_i32 s5, s3, s0
	s_lshl_b64 s[4:5], s[4:5], 3
	s_add_u32 s0, s8, s4
	s_addc_u32 s3, s9, s5
	v_mad_u64_u32 v[2:3], s[4:5], s13, v0, v[2:3]
	s_lshl_b64 s[4:5], s[10:11], 3
	s_add_u32 s0, s0, s4
	v_lshlrev_b64 v[0:1], 3, v[1:2]
	s_addc_u32 s3, s3, s5
	v_mov_b32_e32 v2, s3
	v_add_co_u32_e32 v0, vcc, s0, v0
	v_addc_co_u32_e32 v1, vcc, v2, v1, vcc
	global_load_dwordx2 v[2:3], v[0:1], off
	s_waitcnt vmcnt(0)
	v_mul_f32_e32 v5, s2, v3
	v_mul_f32_e32 v4, s1, v3
	v_fma_f32 v3, s1, v2, -v5
	v_fmac_f32_e32 v4, s2, v2
	global_store_dwordx2 v[0:1], v[3:4], off
.LBB141_2:
	s_endpgm
	.section	.rodata,"a",@progbits
	.p2align	6, 0x0
	.amdhsa_kernel _ZL19rocblas_scal_kernelIlLi256E19rocblas_complex_numIfES1_S1_PS1_EviT3_lT4_lT_li
		.amdhsa_group_segment_fixed_size 0
		.amdhsa_private_segment_fixed_size 0
		.amdhsa_kernarg_size 60
		.amdhsa_user_sgpr_count 6
		.amdhsa_user_sgpr_private_segment_buffer 1
		.amdhsa_user_sgpr_dispatch_ptr 0
		.amdhsa_user_sgpr_queue_ptr 0
		.amdhsa_user_sgpr_kernarg_segment_ptr 1
		.amdhsa_user_sgpr_dispatch_id 0
		.amdhsa_user_sgpr_flat_scratch_init 0
		.amdhsa_user_sgpr_private_segment_size 0
		.amdhsa_uses_dynamic_stack 0
		.amdhsa_system_sgpr_private_segment_wavefront_offset 0
		.amdhsa_system_sgpr_workgroup_id_x 1
		.amdhsa_system_sgpr_workgroup_id_y 0
		.amdhsa_system_sgpr_workgroup_id_z 1
		.amdhsa_system_sgpr_workgroup_info 0
		.amdhsa_system_vgpr_workitem_id 0
		.amdhsa_next_free_vgpr 6
		.amdhsa_next_free_sgpr 16
		.amdhsa_reserve_vcc 1
		.amdhsa_reserve_flat_scratch 0
		.amdhsa_float_round_mode_32 0
		.amdhsa_float_round_mode_16_64 0
		.amdhsa_float_denorm_mode_32 3
		.amdhsa_float_denorm_mode_16_64 3
		.amdhsa_dx10_clamp 1
		.amdhsa_ieee_mode 1
		.amdhsa_fp16_overflow 0
		.amdhsa_exception_fp_ieee_invalid_op 0
		.amdhsa_exception_fp_denorm_src 0
		.amdhsa_exception_fp_ieee_div_zero 0
		.amdhsa_exception_fp_ieee_overflow 0
		.amdhsa_exception_fp_ieee_underflow 0
		.amdhsa_exception_fp_ieee_inexact 0
		.amdhsa_exception_int_div_zero 0
	.end_amdhsa_kernel
	.section	.text._ZL19rocblas_scal_kernelIlLi256E19rocblas_complex_numIfES1_S1_PS1_EviT3_lT4_lT_li,"axG",@progbits,_ZL19rocblas_scal_kernelIlLi256E19rocblas_complex_numIfES1_S1_PS1_EviT3_lT4_lT_li,comdat
.Lfunc_end141:
	.size	_ZL19rocblas_scal_kernelIlLi256E19rocblas_complex_numIfES1_S1_PS1_EviT3_lT4_lT_li, .Lfunc_end141-_ZL19rocblas_scal_kernelIlLi256E19rocblas_complex_numIfES1_S1_PS1_EviT3_lT4_lT_li
                                        ; -- End function
	.set _ZL19rocblas_scal_kernelIlLi256E19rocblas_complex_numIfES1_S1_PS1_EviT3_lT4_lT_li.num_vgpr, 6
	.set _ZL19rocblas_scal_kernelIlLi256E19rocblas_complex_numIfES1_S1_PS1_EviT3_lT4_lT_li.num_agpr, 0
	.set _ZL19rocblas_scal_kernelIlLi256E19rocblas_complex_numIfES1_S1_PS1_EviT3_lT4_lT_li.numbered_sgpr, 16
	.set _ZL19rocblas_scal_kernelIlLi256E19rocblas_complex_numIfES1_S1_PS1_EviT3_lT4_lT_li.num_named_barrier, 0
	.set _ZL19rocblas_scal_kernelIlLi256E19rocblas_complex_numIfES1_S1_PS1_EviT3_lT4_lT_li.private_seg_size, 0
	.set _ZL19rocblas_scal_kernelIlLi256E19rocblas_complex_numIfES1_S1_PS1_EviT3_lT4_lT_li.uses_vcc, 1
	.set _ZL19rocblas_scal_kernelIlLi256E19rocblas_complex_numIfES1_S1_PS1_EviT3_lT4_lT_li.uses_flat_scratch, 0
	.set _ZL19rocblas_scal_kernelIlLi256E19rocblas_complex_numIfES1_S1_PS1_EviT3_lT4_lT_li.has_dyn_sized_stack, 0
	.set _ZL19rocblas_scal_kernelIlLi256E19rocblas_complex_numIfES1_S1_PS1_EviT3_lT4_lT_li.has_recursion, 0
	.set _ZL19rocblas_scal_kernelIlLi256E19rocblas_complex_numIfES1_S1_PS1_EviT3_lT4_lT_li.has_indirect_call, 0
	.section	.AMDGPU.csdata,"",@progbits
; Kernel info:
; codeLenInByte = 188
; TotalNumSgprs: 20
; NumVgprs: 6
; ScratchSize: 0
; MemoryBound: 0
; FloatMode: 240
; IeeeMode: 1
; LDSByteSize: 0 bytes/workgroup (compile time only)
; SGPRBlocks: 2
; VGPRBlocks: 1
; NumSGPRsForWavesPerEU: 20
; NumVGPRsForWavesPerEU: 6
; Occupancy: 10
; WaveLimiterHint : 0
; COMPUTE_PGM_RSRC2:SCRATCH_EN: 0
; COMPUTE_PGM_RSRC2:USER_SGPR: 6
; COMPUTE_PGM_RSRC2:TRAP_HANDLER: 0
; COMPUTE_PGM_RSRC2:TGID_X_EN: 1
; COMPUTE_PGM_RSRC2:TGID_Y_EN: 0
; COMPUTE_PGM_RSRC2:TGID_Z_EN: 1
; COMPUTE_PGM_RSRC2:TIDIG_COMP_CNT: 0
	.section	.text._ZL22rocblas_sscal_2_kernelILi256E19rocblas_complex_numIfES1_PKS1_PKPS1_EviT2_lT3_lli,"axG",@progbits,_ZL22rocblas_sscal_2_kernelILi256E19rocblas_complex_numIfES1_PKS1_PKPS1_EviT2_lT3_lli,comdat
	.globl	_ZL22rocblas_sscal_2_kernelILi256E19rocblas_complex_numIfES1_PKS1_PKPS1_EviT2_lT3_lli ; -- Begin function _ZL22rocblas_sscal_2_kernelILi256E19rocblas_complex_numIfES1_PKS1_PKPS1_EviT2_lT3_lli
	.p2align	8
	.type	_ZL22rocblas_sscal_2_kernelILi256E19rocblas_complex_numIfES1_PKS1_PKPS1_EviT2_lT3_lli,@function
_ZL22rocblas_sscal_2_kernelILi256E19rocblas_complex_numIfES1_PKS1_PKPS1_EviT2_lT3_lli: ; @_ZL22rocblas_sscal_2_kernelILi256E19rocblas_complex_numIfES1_PKS1_PKPS1_EviT2_lT3_lli
; %bb.0:
	s_load_dwordx4 s[8:11], s[4:5], 0x8
	s_waitcnt lgkmcnt(0)
	s_mul_i32 s0, s11, s7
	s_mul_hi_u32 s1, s10, s7
	s_add_i32 s1, s1, s0
	s_mul_i32 s0, s10, s7
	s_lshl_b64 s[0:1], s[0:1], 3
	s_add_u32 s8, s8, s0
	s_addc_u32 s9, s9, s1
	s_load_dwordx2 s[0:1], s[8:9], 0x0
	s_waitcnt lgkmcnt(0)
	v_cmp_neq_f32_e64 s[8:9], s0, 1.0
	v_cmp_neq_f32_e64 s[10:11], s1, 0
	s_or_b64 s[8:9], s[8:9], s[10:11]
	s_andn2_b64 vcc, exec, s[8:9]
	s_cbranch_vccnz .LBB142_5
; %bb.1:
	s_load_dwordx4 s[8:11], s[4:5], 0x18
	s_mov_b32 s2, s7
	s_mov_b32 s3, 0
	s_lshl_b64 s[2:3], s[2:3], 3
	s_load_dword s4, s[4:5], 0x0
	s_waitcnt lgkmcnt(0)
	s_add_u32 s2, s8, s2
	s_addc_u32 s3, s9, s3
	s_load_dwordx2 s[2:3], s[2:3], 0x0
	v_lshlrev_b32_e32 v0, 1, v0
	v_lshl_or_b32 v0, s6, 9, v0
	s_lshl_b64 s[6:7], s[10:11], 3
	v_or_b32_e32 v1, 1, v0
	s_waitcnt lgkmcnt(0)
	s_add_u32 s5, s2, s6
	s_addc_u32 s6, s3, s7
	v_cmp_gt_u32_e32 vcc, s4, v1
	s_and_saveexec_b64 s[2:3], vcc
	s_cbranch_execz .LBB142_3
; %bb.2:
	v_mov_b32_e32 v1, 0
	v_lshlrev_b64 v[1:2], 3, v[0:1]
	v_mov_b32_e32 v3, s6
	v_add_co_u32_e32 v8, vcc, s5, v1
	v_addc_co_u32_e32 v9, vcc, v3, v2, vcc
	flat_load_dwordx4 v[1:4], v[8:9]
	s_waitcnt vmcnt(0) lgkmcnt(0)
	v_mul_f32_e32 v6, s1, v2
	v_mul_f32_e32 v5, s0, v2
	;; [unrolled: 1-line block ×4, first 2 shown]
	v_fma_f32 v4, s0, v1, -v6
	v_fmac_f32_e32 v5, s1, v1
	v_fma_f32 v6, s0, v3, -v2
	v_fmac_f32_e32 v7, s1, v3
	flat_store_dwordx4 v[8:9], v[4:7]
.LBB142_3:
	s_or_b64 exec, exec, s[2:3]
	s_bitcmp1_b32 s4, 0
	s_cselect_b64 s[2:3], -1, 0
	s_add_i32 s4, s4, -1
	v_cmp_eq_u32_e32 vcc, s4, v0
	s_and_b64 s[2:3], s[2:3], vcc
	s_and_saveexec_b64 s[8:9], s[2:3]
	s_cbranch_execz .LBB142_5
; %bb.4:
	v_mov_b32_e32 v1, 0
	v_lshlrev_b64 v[0:1], 3, v[0:1]
	v_mov_b32_e32 v2, s6
	v_add_co_u32_e32 v0, vcc, s5, v0
	v_addc_co_u32_e32 v1, vcc, v2, v1, vcc
	flat_load_dwordx2 v[2:3], v[0:1]
	s_waitcnt vmcnt(0) lgkmcnt(0)
	v_mul_f32_e32 v5, s1, v3
	v_mul_f32_e32 v4, s0, v3
	v_fma_f32 v3, s0, v2, -v5
	v_fmac_f32_e32 v4, s1, v2
	flat_store_dwordx2 v[0:1], v[3:4]
.LBB142_5:
	s_endpgm
	.section	.rodata,"a",@progbits
	.p2align	6, 0x0
	.amdhsa_kernel _ZL22rocblas_sscal_2_kernelILi256E19rocblas_complex_numIfES1_PKS1_PKPS1_EviT2_lT3_lli
		.amdhsa_group_segment_fixed_size 0
		.amdhsa_private_segment_fixed_size 0
		.amdhsa_kernarg_size 52
		.amdhsa_user_sgpr_count 6
		.amdhsa_user_sgpr_private_segment_buffer 1
		.amdhsa_user_sgpr_dispatch_ptr 0
		.amdhsa_user_sgpr_queue_ptr 0
		.amdhsa_user_sgpr_kernarg_segment_ptr 1
		.amdhsa_user_sgpr_dispatch_id 0
		.amdhsa_user_sgpr_flat_scratch_init 0
		.amdhsa_user_sgpr_private_segment_size 0
		.amdhsa_uses_dynamic_stack 0
		.amdhsa_system_sgpr_private_segment_wavefront_offset 0
		.amdhsa_system_sgpr_workgroup_id_x 1
		.amdhsa_system_sgpr_workgroup_id_y 0
		.amdhsa_system_sgpr_workgroup_id_z 1
		.amdhsa_system_sgpr_workgroup_info 0
		.amdhsa_system_vgpr_workitem_id 0
		.amdhsa_next_free_vgpr 10
		.amdhsa_next_free_sgpr 12
		.amdhsa_reserve_vcc 1
		.amdhsa_reserve_flat_scratch 0
		.amdhsa_float_round_mode_32 0
		.amdhsa_float_round_mode_16_64 0
		.amdhsa_float_denorm_mode_32 3
		.amdhsa_float_denorm_mode_16_64 3
		.amdhsa_dx10_clamp 1
		.amdhsa_ieee_mode 1
		.amdhsa_fp16_overflow 0
		.amdhsa_exception_fp_ieee_invalid_op 0
		.amdhsa_exception_fp_denorm_src 0
		.amdhsa_exception_fp_ieee_div_zero 0
		.amdhsa_exception_fp_ieee_overflow 0
		.amdhsa_exception_fp_ieee_underflow 0
		.amdhsa_exception_fp_ieee_inexact 0
		.amdhsa_exception_int_div_zero 0
	.end_amdhsa_kernel
	.section	.text._ZL22rocblas_sscal_2_kernelILi256E19rocblas_complex_numIfES1_PKS1_PKPS1_EviT2_lT3_lli,"axG",@progbits,_ZL22rocblas_sscal_2_kernelILi256E19rocblas_complex_numIfES1_PKS1_PKPS1_EviT2_lT3_lli,comdat
.Lfunc_end142:
	.size	_ZL22rocblas_sscal_2_kernelILi256E19rocblas_complex_numIfES1_PKS1_PKPS1_EviT2_lT3_lli, .Lfunc_end142-_ZL22rocblas_sscal_2_kernelILi256E19rocblas_complex_numIfES1_PKS1_PKPS1_EviT2_lT3_lli
                                        ; -- End function
	.set _ZL22rocblas_sscal_2_kernelILi256E19rocblas_complex_numIfES1_PKS1_PKPS1_EviT2_lT3_lli.num_vgpr, 10
	.set _ZL22rocblas_sscal_2_kernelILi256E19rocblas_complex_numIfES1_PKS1_PKPS1_EviT2_lT3_lli.num_agpr, 0
	.set _ZL22rocblas_sscal_2_kernelILi256E19rocblas_complex_numIfES1_PKS1_PKPS1_EviT2_lT3_lli.numbered_sgpr, 12
	.set _ZL22rocblas_sscal_2_kernelILi256E19rocblas_complex_numIfES1_PKS1_PKPS1_EviT2_lT3_lli.num_named_barrier, 0
	.set _ZL22rocblas_sscal_2_kernelILi256E19rocblas_complex_numIfES1_PKS1_PKPS1_EviT2_lT3_lli.private_seg_size, 0
	.set _ZL22rocblas_sscal_2_kernelILi256E19rocblas_complex_numIfES1_PKS1_PKPS1_EviT2_lT3_lli.uses_vcc, 1
	.set _ZL22rocblas_sscal_2_kernelILi256E19rocblas_complex_numIfES1_PKS1_PKPS1_EviT2_lT3_lli.uses_flat_scratch, 0
	.set _ZL22rocblas_sscal_2_kernelILi256E19rocblas_complex_numIfES1_PKS1_PKPS1_EviT2_lT3_lli.has_dyn_sized_stack, 0
	.set _ZL22rocblas_sscal_2_kernelILi256E19rocblas_complex_numIfES1_PKS1_PKPS1_EviT2_lT3_lli.has_recursion, 0
	.set _ZL22rocblas_sscal_2_kernelILi256E19rocblas_complex_numIfES1_PKS1_PKPS1_EviT2_lT3_lli.has_indirect_call, 0
	.section	.AMDGPU.csdata,"",@progbits
; Kernel info:
; codeLenInByte = 356
; TotalNumSgprs: 16
; NumVgprs: 10
; ScratchSize: 0
; MemoryBound: 0
; FloatMode: 240
; IeeeMode: 1
; LDSByteSize: 0 bytes/workgroup (compile time only)
; SGPRBlocks: 1
; VGPRBlocks: 2
; NumSGPRsForWavesPerEU: 16
; NumVGPRsForWavesPerEU: 10
; Occupancy: 10
; WaveLimiterHint : 1
; COMPUTE_PGM_RSRC2:SCRATCH_EN: 0
; COMPUTE_PGM_RSRC2:USER_SGPR: 6
; COMPUTE_PGM_RSRC2:TRAP_HANDLER: 0
; COMPUTE_PGM_RSRC2:TGID_X_EN: 1
; COMPUTE_PGM_RSRC2:TGID_Y_EN: 0
; COMPUTE_PGM_RSRC2:TGID_Z_EN: 1
; COMPUTE_PGM_RSRC2:TIDIG_COMP_CNT: 0
	.section	.text._ZL22rocblas_sscal_2_kernelILi256E19rocblas_complex_numIfES1_S1_PKPS1_EviT2_lT3_lli,"axG",@progbits,_ZL22rocblas_sscal_2_kernelILi256E19rocblas_complex_numIfES1_S1_PKPS1_EviT2_lT3_lli,comdat
	.globl	_ZL22rocblas_sscal_2_kernelILi256E19rocblas_complex_numIfES1_S1_PKPS1_EviT2_lT3_lli ; -- Begin function _ZL22rocblas_sscal_2_kernelILi256E19rocblas_complex_numIfES1_S1_PKPS1_EviT2_lT3_lli
	.p2align	8
	.type	_ZL22rocblas_sscal_2_kernelILi256E19rocblas_complex_numIfES1_S1_PKPS1_EviT2_lT3_lli,@function
_ZL22rocblas_sscal_2_kernelILi256E19rocblas_complex_numIfES1_S1_PKPS1_EviT2_lT3_lli: ; @_ZL22rocblas_sscal_2_kernelILi256E19rocblas_complex_numIfES1_S1_PKPS1_EviT2_lT3_lli
; %bb.0:
	s_load_dwordx4 s[0:3], s[4:5], 0x0
	s_mov_b32 s9, 0
	s_waitcnt lgkmcnt(0)
	v_cmp_neq_f32_e64 s[10:11], s1, 1.0
	v_cmp_neq_f32_e64 s[12:13], s2, 0
	s_or_b64 s[10:11], s[10:11], s[12:13]
	s_andn2_b64 vcc, exec, s[10:11]
	s_cbranch_vccnz .LBB143_5
; %bb.1:
	s_load_dwordx4 s[12:15], s[4:5], 0x18
	s_mov_b32 s8, s7
	s_lshl_b64 s[4:5], s[8:9], 3
	v_lshlrev_b32_e32 v0, 1, v0
	v_lshl_or_b32 v0, s6, 9, v0
	s_waitcnt lgkmcnt(0)
	s_add_u32 s4, s12, s4
	s_addc_u32 s5, s13, s5
	s_load_dwordx2 s[4:5], s[4:5], 0x0
	s_lshl_b64 s[6:7], s[14:15], 3
	v_or_b32_e32 v1, 1, v0
	v_cmp_gt_u32_e32 vcc, s0, v1
	s_waitcnt lgkmcnt(0)
	s_add_u32 s3, s4, s6
	s_addc_u32 s6, s5, s7
	s_and_saveexec_b64 s[4:5], vcc
	s_cbranch_execz .LBB143_3
; %bb.2:
	v_mov_b32_e32 v1, 0
	v_lshlrev_b64 v[1:2], 3, v[0:1]
	v_mov_b32_e32 v3, s6
	v_add_co_u32_e32 v8, vcc, s3, v1
	v_addc_co_u32_e32 v9, vcc, v3, v2, vcc
	flat_load_dwordx4 v[1:4], v[8:9]
	s_waitcnt vmcnt(0) lgkmcnt(0)
	v_mul_f32_e32 v6, s2, v2
	v_mul_f32_e32 v5, s1, v2
	;; [unrolled: 1-line block ×4, first 2 shown]
	v_fma_f32 v4, s1, v1, -v6
	v_fmac_f32_e32 v5, s2, v1
	v_fma_f32 v6, s1, v3, -v2
	v_fmac_f32_e32 v7, s2, v3
	flat_store_dwordx4 v[8:9], v[4:7]
.LBB143_3:
	s_or_b64 exec, exec, s[4:5]
	s_bitcmp1_b32 s0, 0
	s_cselect_b64 s[4:5], -1, 0
	s_add_i32 s0, s0, -1
	v_cmp_eq_u32_e32 vcc, s0, v0
	s_and_b64 s[4:5], s[4:5], vcc
	s_and_saveexec_b64 s[8:9], s[4:5]
	s_cbranch_execz .LBB143_5
; %bb.4:
	v_mov_b32_e32 v1, 0
	v_lshlrev_b64 v[0:1], 3, v[0:1]
	v_mov_b32_e32 v2, s6
	v_add_co_u32_e32 v0, vcc, s3, v0
	v_addc_co_u32_e32 v1, vcc, v2, v1, vcc
	flat_load_dwordx2 v[2:3], v[0:1]
	s_waitcnt vmcnt(0) lgkmcnt(0)
	v_mul_f32_e32 v5, s2, v3
	v_mul_f32_e32 v4, s1, v3
	v_fma_f32 v3, s1, v2, -v5
	v_fmac_f32_e32 v4, s2, v2
	flat_store_dwordx2 v[0:1], v[3:4]
.LBB143_5:
	s_endpgm
	.section	.rodata,"a",@progbits
	.p2align	6, 0x0
	.amdhsa_kernel _ZL22rocblas_sscal_2_kernelILi256E19rocblas_complex_numIfES1_S1_PKPS1_EviT2_lT3_lli
		.amdhsa_group_segment_fixed_size 0
		.amdhsa_private_segment_fixed_size 0
		.amdhsa_kernarg_size 52
		.amdhsa_user_sgpr_count 6
		.amdhsa_user_sgpr_private_segment_buffer 1
		.amdhsa_user_sgpr_dispatch_ptr 0
		.amdhsa_user_sgpr_queue_ptr 0
		.amdhsa_user_sgpr_kernarg_segment_ptr 1
		.amdhsa_user_sgpr_dispatch_id 0
		.amdhsa_user_sgpr_flat_scratch_init 0
		.amdhsa_user_sgpr_private_segment_size 0
		.amdhsa_uses_dynamic_stack 0
		.amdhsa_system_sgpr_private_segment_wavefront_offset 0
		.amdhsa_system_sgpr_workgroup_id_x 1
		.amdhsa_system_sgpr_workgroup_id_y 0
		.amdhsa_system_sgpr_workgroup_id_z 1
		.amdhsa_system_sgpr_workgroup_info 0
		.amdhsa_system_vgpr_workitem_id 0
		.amdhsa_next_free_vgpr 10
		.amdhsa_next_free_sgpr 16
		.amdhsa_reserve_vcc 1
		.amdhsa_reserve_flat_scratch 0
		.amdhsa_float_round_mode_32 0
		.amdhsa_float_round_mode_16_64 0
		.amdhsa_float_denorm_mode_32 3
		.amdhsa_float_denorm_mode_16_64 3
		.amdhsa_dx10_clamp 1
		.amdhsa_ieee_mode 1
		.amdhsa_fp16_overflow 0
		.amdhsa_exception_fp_ieee_invalid_op 0
		.amdhsa_exception_fp_denorm_src 0
		.amdhsa_exception_fp_ieee_div_zero 0
		.amdhsa_exception_fp_ieee_overflow 0
		.amdhsa_exception_fp_ieee_underflow 0
		.amdhsa_exception_fp_ieee_inexact 0
		.amdhsa_exception_int_div_zero 0
	.end_amdhsa_kernel
	.section	.text._ZL22rocblas_sscal_2_kernelILi256E19rocblas_complex_numIfES1_S1_PKPS1_EviT2_lT3_lli,"axG",@progbits,_ZL22rocblas_sscal_2_kernelILi256E19rocblas_complex_numIfES1_S1_PKPS1_EviT2_lT3_lli,comdat
.Lfunc_end143:
	.size	_ZL22rocblas_sscal_2_kernelILi256E19rocblas_complex_numIfES1_S1_PKPS1_EviT2_lT3_lli, .Lfunc_end143-_ZL22rocblas_sscal_2_kernelILi256E19rocblas_complex_numIfES1_S1_PKPS1_EviT2_lT3_lli
                                        ; -- End function
	.set _ZL22rocblas_sscal_2_kernelILi256E19rocblas_complex_numIfES1_S1_PKPS1_EviT2_lT3_lli.num_vgpr, 10
	.set _ZL22rocblas_sscal_2_kernelILi256E19rocblas_complex_numIfES1_S1_PKPS1_EviT2_lT3_lli.num_agpr, 0
	.set _ZL22rocblas_sscal_2_kernelILi256E19rocblas_complex_numIfES1_S1_PKPS1_EviT2_lT3_lli.numbered_sgpr, 16
	.set _ZL22rocblas_sscal_2_kernelILi256E19rocblas_complex_numIfES1_S1_PKPS1_EviT2_lT3_lli.num_named_barrier, 0
	.set _ZL22rocblas_sscal_2_kernelILi256E19rocblas_complex_numIfES1_S1_PKPS1_EviT2_lT3_lli.private_seg_size, 0
	.set _ZL22rocblas_sscal_2_kernelILi256E19rocblas_complex_numIfES1_S1_PKPS1_EviT2_lT3_lli.uses_vcc, 1
	.set _ZL22rocblas_sscal_2_kernelILi256E19rocblas_complex_numIfES1_S1_PKPS1_EviT2_lT3_lli.uses_flat_scratch, 0
	.set _ZL22rocblas_sscal_2_kernelILi256E19rocblas_complex_numIfES1_S1_PKPS1_EviT2_lT3_lli.has_dyn_sized_stack, 0
	.set _ZL22rocblas_sscal_2_kernelILi256E19rocblas_complex_numIfES1_S1_PKPS1_EviT2_lT3_lli.has_recursion, 0
	.set _ZL22rocblas_sscal_2_kernelILi256E19rocblas_complex_numIfES1_S1_PKPS1_EviT2_lT3_lli.has_indirect_call, 0
	.section	.AMDGPU.csdata,"",@progbits
; Kernel info:
; codeLenInByte = 308
; TotalNumSgprs: 20
; NumVgprs: 10
; ScratchSize: 0
; MemoryBound: 0
; FloatMode: 240
; IeeeMode: 1
; LDSByteSize: 0 bytes/workgroup (compile time only)
; SGPRBlocks: 2
; VGPRBlocks: 2
; NumSGPRsForWavesPerEU: 20
; NumVGPRsForWavesPerEU: 10
; Occupancy: 10
; WaveLimiterHint : 1
; COMPUTE_PGM_RSRC2:SCRATCH_EN: 0
; COMPUTE_PGM_RSRC2:USER_SGPR: 6
; COMPUTE_PGM_RSRC2:TRAP_HANDLER: 0
; COMPUTE_PGM_RSRC2:TGID_X_EN: 1
; COMPUTE_PGM_RSRC2:TGID_Y_EN: 0
; COMPUTE_PGM_RSRC2:TGID_Z_EN: 1
; COMPUTE_PGM_RSRC2:TIDIG_COMP_CNT: 0
	.section	.text._ZL19rocblas_scal_kernelIiLi256E19rocblas_complex_numIfES1_PKS1_PKPS1_EviT3_lT4_lT_li,"axG",@progbits,_ZL19rocblas_scal_kernelIiLi256E19rocblas_complex_numIfES1_PKS1_PKPS1_EviT3_lT4_lT_li,comdat
	.globl	_ZL19rocblas_scal_kernelIiLi256E19rocblas_complex_numIfES1_PKS1_PKPS1_EviT3_lT4_lT_li ; -- Begin function _ZL19rocblas_scal_kernelIiLi256E19rocblas_complex_numIfES1_PKS1_PKPS1_EviT3_lT4_lT_li
	.p2align	8
	.type	_ZL19rocblas_scal_kernelIiLi256E19rocblas_complex_numIfES1_PKS1_PKPS1_EviT3_lT4_lT_li,@function
_ZL19rocblas_scal_kernelIiLi256E19rocblas_complex_numIfES1_PKS1_PKPS1_EviT3_lT4_lT_li: ; @_ZL19rocblas_scal_kernelIiLi256E19rocblas_complex_numIfES1_PKS1_PKPS1_EviT3_lT4_lT_li
; %bb.0:
	s_load_dwordx8 s[8:15], s[4:5], 0x8
	s_mov_b32 s2, s7
	v_lshl_or_b32 v0, s6, 8, v0
	s_waitcnt lgkmcnt(0)
	s_mul_i32 s0, s11, s7
	s_mul_hi_u32 s1, s10, s7
	s_add_i32 s1, s1, s0
	s_mul_i32 s0, s10, s7
	s_lshl_b64 s[0:1], s[0:1], 3
	s_add_u32 s8, s8, s0
	s_addc_u32 s9, s9, s1
	s_load_dwordx2 s[0:1], s[8:9], 0x0
	s_load_dword s3, s[4:5], 0x0
	s_waitcnt lgkmcnt(0)
	v_cmp_neq_f32_e64 s[6:7], s0, 1.0
	v_cmp_neq_f32_e64 s[8:9], s1, 0
	s_or_b64 s[6:7], s[6:7], s[8:9]
	v_cmp_gt_u32_e32 vcc, s3, v0
	s_and_b64 s[6:7], vcc, s[6:7]
	s_and_saveexec_b64 s[8:9], s[6:7]
	s_cbranch_execz .LBB144_2
; %bb.1:
	s_load_dword s4, s[4:5], 0x28
	s_mov_b32 s3, 0
	s_lshl_b64 s[2:3], s[2:3], 3
	s_waitcnt lgkmcnt(0)
	s_ashr_i32 s6, s4, 31
	v_mad_u64_u32 v[1:2], s[4:5], s4, v0, 0
	s_add_u32 s2, s12, s2
	s_addc_u32 s3, s13, s3
	s_load_dwordx2 s[2:3], s[2:3], 0x0
	v_mad_u64_u32 v[2:3], s[4:5], s6, v0, v[2:3]
	s_lshl_b64 s[4:5], s[14:15], 3
	s_waitcnt lgkmcnt(0)
	s_add_u32 s2, s2, s4
	v_lshlrev_b64 v[0:1], 3, v[1:2]
	s_addc_u32 s3, s3, s5
	v_mov_b32_e32 v2, s3
	v_add_co_u32_e32 v0, vcc, s2, v0
	v_addc_co_u32_e32 v1, vcc, v2, v1, vcc
	flat_load_dwordx2 v[2:3], v[0:1]
	s_waitcnt vmcnt(0) lgkmcnt(0)
	v_mul_f32_e32 v5, s1, v3
	v_mul_f32_e32 v4, s0, v3
	v_fma_f32 v3, s0, v2, -v5
	v_fmac_f32_e32 v4, s1, v2
	flat_store_dwordx2 v[0:1], v[3:4]
.LBB144_2:
	s_endpgm
	.section	.rodata,"a",@progbits
	.p2align	6, 0x0
	.amdhsa_kernel _ZL19rocblas_scal_kernelIiLi256E19rocblas_complex_numIfES1_PKS1_PKPS1_EviT3_lT4_lT_li
		.amdhsa_group_segment_fixed_size 0
		.amdhsa_private_segment_fixed_size 0
		.amdhsa_kernarg_size 60
		.amdhsa_user_sgpr_count 6
		.amdhsa_user_sgpr_private_segment_buffer 1
		.amdhsa_user_sgpr_dispatch_ptr 0
		.amdhsa_user_sgpr_queue_ptr 0
		.amdhsa_user_sgpr_kernarg_segment_ptr 1
		.amdhsa_user_sgpr_dispatch_id 0
		.amdhsa_user_sgpr_flat_scratch_init 0
		.amdhsa_user_sgpr_private_segment_size 0
		.amdhsa_uses_dynamic_stack 0
		.amdhsa_system_sgpr_private_segment_wavefront_offset 0
		.amdhsa_system_sgpr_workgroup_id_x 1
		.amdhsa_system_sgpr_workgroup_id_y 0
		.amdhsa_system_sgpr_workgroup_id_z 1
		.amdhsa_system_sgpr_workgroup_info 0
		.amdhsa_system_vgpr_workitem_id 0
		.amdhsa_next_free_vgpr 6
		.amdhsa_next_free_sgpr 16
		.amdhsa_reserve_vcc 1
		.amdhsa_reserve_flat_scratch 0
		.amdhsa_float_round_mode_32 0
		.amdhsa_float_round_mode_16_64 0
		.amdhsa_float_denorm_mode_32 3
		.amdhsa_float_denorm_mode_16_64 3
		.amdhsa_dx10_clamp 1
		.amdhsa_ieee_mode 1
		.amdhsa_fp16_overflow 0
		.amdhsa_exception_fp_ieee_invalid_op 0
		.amdhsa_exception_fp_denorm_src 0
		.amdhsa_exception_fp_ieee_div_zero 0
		.amdhsa_exception_fp_ieee_overflow 0
		.amdhsa_exception_fp_ieee_underflow 0
		.amdhsa_exception_fp_ieee_inexact 0
		.amdhsa_exception_int_div_zero 0
	.end_amdhsa_kernel
	.section	.text._ZL19rocblas_scal_kernelIiLi256E19rocblas_complex_numIfES1_PKS1_PKPS1_EviT3_lT4_lT_li,"axG",@progbits,_ZL19rocblas_scal_kernelIiLi256E19rocblas_complex_numIfES1_PKS1_PKPS1_EviT3_lT4_lT_li,comdat
.Lfunc_end144:
	.size	_ZL19rocblas_scal_kernelIiLi256E19rocblas_complex_numIfES1_PKS1_PKPS1_EviT3_lT4_lT_li, .Lfunc_end144-_ZL19rocblas_scal_kernelIiLi256E19rocblas_complex_numIfES1_PKS1_PKPS1_EviT3_lT4_lT_li
                                        ; -- End function
	.set _ZL19rocblas_scal_kernelIiLi256E19rocblas_complex_numIfES1_PKS1_PKPS1_EviT3_lT4_lT_li.num_vgpr, 6
	.set _ZL19rocblas_scal_kernelIiLi256E19rocblas_complex_numIfES1_PKS1_PKPS1_EviT3_lT4_lT_li.num_agpr, 0
	.set _ZL19rocblas_scal_kernelIiLi256E19rocblas_complex_numIfES1_PKS1_PKPS1_EviT3_lT4_lT_li.numbered_sgpr, 16
	.set _ZL19rocblas_scal_kernelIiLi256E19rocblas_complex_numIfES1_PKS1_PKPS1_EviT3_lT4_lT_li.num_named_barrier, 0
	.set _ZL19rocblas_scal_kernelIiLi256E19rocblas_complex_numIfES1_PKS1_PKPS1_EviT3_lT4_lT_li.private_seg_size, 0
	.set _ZL19rocblas_scal_kernelIiLi256E19rocblas_complex_numIfES1_PKS1_PKPS1_EviT3_lT4_lT_li.uses_vcc, 1
	.set _ZL19rocblas_scal_kernelIiLi256E19rocblas_complex_numIfES1_PKS1_PKPS1_EviT3_lT4_lT_li.uses_flat_scratch, 0
	.set _ZL19rocblas_scal_kernelIiLi256E19rocblas_complex_numIfES1_PKS1_PKPS1_EviT3_lT4_lT_li.has_dyn_sized_stack, 0
	.set _ZL19rocblas_scal_kernelIiLi256E19rocblas_complex_numIfES1_PKS1_PKPS1_EviT3_lT4_lT_li.has_recursion, 0
	.set _ZL19rocblas_scal_kernelIiLi256E19rocblas_complex_numIfES1_PKS1_PKPS1_EviT3_lT4_lT_li.has_indirect_call, 0
	.section	.AMDGPU.csdata,"",@progbits
; Kernel info:
; codeLenInByte = 244
; TotalNumSgprs: 20
; NumVgprs: 6
; ScratchSize: 0
; MemoryBound: 0
; FloatMode: 240
; IeeeMode: 1
; LDSByteSize: 0 bytes/workgroup (compile time only)
; SGPRBlocks: 2
; VGPRBlocks: 1
; NumSGPRsForWavesPerEU: 20
; NumVGPRsForWavesPerEU: 6
; Occupancy: 10
; WaveLimiterHint : 1
; COMPUTE_PGM_RSRC2:SCRATCH_EN: 0
; COMPUTE_PGM_RSRC2:USER_SGPR: 6
; COMPUTE_PGM_RSRC2:TRAP_HANDLER: 0
; COMPUTE_PGM_RSRC2:TGID_X_EN: 1
; COMPUTE_PGM_RSRC2:TGID_Y_EN: 0
; COMPUTE_PGM_RSRC2:TGID_Z_EN: 1
; COMPUTE_PGM_RSRC2:TIDIG_COMP_CNT: 0
	.section	.text._ZL19rocblas_scal_kernelIiLi256E19rocblas_complex_numIfES1_S1_PKPS1_EviT3_lT4_lT_li,"axG",@progbits,_ZL19rocblas_scal_kernelIiLi256E19rocblas_complex_numIfES1_S1_PKPS1_EviT3_lT4_lT_li,comdat
	.globl	_ZL19rocblas_scal_kernelIiLi256E19rocblas_complex_numIfES1_S1_PKPS1_EviT3_lT4_lT_li ; -- Begin function _ZL19rocblas_scal_kernelIiLi256E19rocblas_complex_numIfES1_S1_PKPS1_EviT3_lT4_lT_li
	.p2align	8
	.type	_ZL19rocblas_scal_kernelIiLi256E19rocblas_complex_numIfES1_S1_PKPS1_EviT3_lT4_lT_li,@function
_ZL19rocblas_scal_kernelIiLi256E19rocblas_complex_numIfES1_S1_PKPS1_EviT3_lT4_lT_li: ; @_ZL19rocblas_scal_kernelIiLi256E19rocblas_complex_numIfES1_S1_PKPS1_EviT3_lT4_lT_li
; %bb.0:
	s_load_dwordx4 s[0:3], s[4:5], 0x0
	s_mov_b32 s8, s7
	v_lshl_or_b32 v0, s6, 8, v0
	s_mov_b32 s9, 0
	s_waitcnt lgkmcnt(0)
	v_cmp_neq_f32_e64 s[6:7], s1, 1.0
	v_cmp_neq_f32_e64 s[10:11], s2, 0
	s_or_b64 s[6:7], s[6:7], s[10:11]
	v_cmp_gt_u32_e32 vcc, s0, v0
	s_and_b64 s[6:7], vcc, s[6:7]
	s_and_saveexec_b64 s[10:11], s[6:7]
	s_cbranch_execz .LBB145_2
; %bb.1:
	s_load_dword s0, s[4:5], 0x28
	s_load_dwordx4 s[12:15], s[4:5], 0x18
	s_lshl_b64 s[4:5], s[8:9], 3
	s_waitcnt lgkmcnt(0)
	s_ashr_i32 s3, s0, 31
	v_mad_u64_u32 v[1:2], s[6:7], s0, v0, 0
	s_add_u32 s4, s12, s4
	s_addc_u32 s5, s13, s5
	s_load_dwordx2 s[4:5], s[4:5], 0x0
	v_mad_u64_u32 v[2:3], s[6:7], s3, v0, v[2:3]
	s_lshl_b64 s[6:7], s[14:15], 3
	s_waitcnt lgkmcnt(0)
	s_add_u32 s0, s4, s6
	v_lshlrev_b64 v[0:1], 3, v[1:2]
	s_addc_u32 s3, s5, s7
	v_mov_b32_e32 v2, s3
	v_add_co_u32_e32 v0, vcc, s0, v0
	v_addc_co_u32_e32 v1, vcc, v2, v1, vcc
	flat_load_dwordx2 v[2:3], v[0:1]
	s_waitcnt vmcnt(0) lgkmcnt(0)
	v_mul_f32_e32 v5, s2, v3
	v_mul_f32_e32 v4, s1, v3
	v_fma_f32 v3, s1, v2, -v5
	v_fmac_f32_e32 v4, s2, v2
	flat_store_dwordx2 v[0:1], v[3:4]
.LBB145_2:
	s_endpgm
	.section	.rodata,"a",@progbits
	.p2align	6, 0x0
	.amdhsa_kernel _ZL19rocblas_scal_kernelIiLi256E19rocblas_complex_numIfES1_S1_PKPS1_EviT3_lT4_lT_li
		.amdhsa_group_segment_fixed_size 0
		.amdhsa_private_segment_fixed_size 0
		.amdhsa_kernarg_size 60
		.amdhsa_user_sgpr_count 6
		.amdhsa_user_sgpr_private_segment_buffer 1
		.amdhsa_user_sgpr_dispatch_ptr 0
		.amdhsa_user_sgpr_queue_ptr 0
		.amdhsa_user_sgpr_kernarg_segment_ptr 1
		.amdhsa_user_sgpr_dispatch_id 0
		.amdhsa_user_sgpr_flat_scratch_init 0
		.amdhsa_user_sgpr_private_segment_size 0
		.amdhsa_uses_dynamic_stack 0
		.amdhsa_system_sgpr_private_segment_wavefront_offset 0
		.amdhsa_system_sgpr_workgroup_id_x 1
		.amdhsa_system_sgpr_workgroup_id_y 0
		.amdhsa_system_sgpr_workgroup_id_z 1
		.amdhsa_system_sgpr_workgroup_info 0
		.amdhsa_system_vgpr_workitem_id 0
		.amdhsa_next_free_vgpr 6
		.amdhsa_next_free_sgpr 16
		.amdhsa_reserve_vcc 1
		.amdhsa_reserve_flat_scratch 0
		.amdhsa_float_round_mode_32 0
		.amdhsa_float_round_mode_16_64 0
		.amdhsa_float_denorm_mode_32 3
		.amdhsa_float_denorm_mode_16_64 3
		.amdhsa_dx10_clamp 1
		.amdhsa_ieee_mode 1
		.amdhsa_fp16_overflow 0
		.amdhsa_exception_fp_ieee_invalid_op 0
		.amdhsa_exception_fp_denorm_src 0
		.amdhsa_exception_fp_ieee_div_zero 0
		.amdhsa_exception_fp_ieee_overflow 0
		.amdhsa_exception_fp_ieee_underflow 0
		.amdhsa_exception_fp_ieee_inexact 0
		.amdhsa_exception_int_div_zero 0
	.end_amdhsa_kernel
	.section	.text._ZL19rocblas_scal_kernelIiLi256E19rocblas_complex_numIfES1_S1_PKPS1_EviT3_lT4_lT_li,"axG",@progbits,_ZL19rocblas_scal_kernelIiLi256E19rocblas_complex_numIfES1_S1_PKPS1_EviT3_lT4_lT_li,comdat
.Lfunc_end145:
	.size	_ZL19rocblas_scal_kernelIiLi256E19rocblas_complex_numIfES1_S1_PKPS1_EviT3_lT4_lT_li, .Lfunc_end145-_ZL19rocblas_scal_kernelIiLi256E19rocblas_complex_numIfES1_S1_PKPS1_EviT3_lT4_lT_li
                                        ; -- End function
	.set _ZL19rocblas_scal_kernelIiLi256E19rocblas_complex_numIfES1_S1_PKPS1_EviT3_lT4_lT_li.num_vgpr, 6
	.set _ZL19rocblas_scal_kernelIiLi256E19rocblas_complex_numIfES1_S1_PKPS1_EviT3_lT4_lT_li.num_agpr, 0
	.set _ZL19rocblas_scal_kernelIiLi256E19rocblas_complex_numIfES1_S1_PKPS1_EviT3_lT4_lT_li.numbered_sgpr, 16
	.set _ZL19rocblas_scal_kernelIiLi256E19rocblas_complex_numIfES1_S1_PKPS1_EviT3_lT4_lT_li.num_named_barrier, 0
	.set _ZL19rocblas_scal_kernelIiLi256E19rocblas_complex_numIfES1_S1_PKPS1_EviT3_lT4_lT_li.private_seg_size, 0
	.set _ZL19rocblas_scal_kernelIiLi256E19rocblas_complex_numIfES1_S1_PKPS1_EviT3_lT4_lT_li.uses_vcc, 1
	.set _ZL19rocblas_scal_kernelIiLi256E19rocblas_complex_numIfES1_S1_PKPS1_EviT3_lT4_lT_li.uses_flat_scratch, 0
	.set _ZL19rocblas_scal_kernelIiLi256E19rocblas_complex_numIfES1_S1_PKPS1_EviT3_lT4_lT_li.has_dyn_sized_stack, 0
	.set _ZL19rocblas_scal_kernelIiLi256E19rocblas_complex_numIfES1_S1_PKPS1_EviT3_lT4_lT_li.has_recursion, 0
	.set _ZL19rocblas_scal_kernelIiLi256E19rocblas_complex_numIfES1_S1_PKPS1_EviT3_lT4_lT_li.has_indirect_call, 0
	.section	.AMDGPU.csdata,"",@progbits
; Kernel info:
; codeLenInByte = 204
; TotalNumSgprs: 20
; NumVgprs: 6
; ScratchSize: 0
; MemoryBound: 0
; FloatMode: 240
; IeeeMode: 1
; LDSByteSize: 0 bytes/workgroup (compile time only)
; SGPRBlocks: 2
; VGPRBlocks: 1
; NumSGPRsForWavesPerEU: 20
; NumVGPRsForWavesPerEU: 6
; Occupancy: 10
; WaveLimiterHint : 1
; COMPUTE_PGM_RSRC2:SCRATCH_EN: 0
; COMPUTE_PGM_RSRC2:USER_SGPR: 6
; COMPUTE_PGM_RSRC2:TRAP_HANDLER: 0
; COMPUTE_PGM_RSRC2:TGID_X_EN: 1
; COMPUTE_PGM_RSRC2:TGID_Y_EN: 0
; COMPUTE_PGM_RSRC2:TGID_Z_EN: 1
; COMPUTE_PGM_RSRC2:TIDIG_COMP_CNT: 0
	.section	.text._ZL19rocblas_scal_kernelIlLi256E19rocblas_complex_numIfES1_PKS1_PKPS1_EviT3_lT4_lT_li,"axG",@progbits,_ZL19rocblas_scal_kernelIlLi256E19rocblas_complex_numIfES1_PKS1_PKPS1_EviT3_lT4_lT_li,comdat
	.globl	_ZL19rocblas_scal_kernelIlLi256E19rocblas_complex_numIfES1_PKS1_PKPS1_EviT3_lT4_lT_li ; -- Begin function _ZL19rocblas_scal_kernelIlLi256E19rocblas_complex_numIfES1_PKS1_PKPS1_EviT3_lT4_lT_li
	.p2align	8
	.type	_ZL19rocblas_scal_kernelIlLi256E19rocblas_complex_numIfES1_PKS1_PKPS1_EviT3_lT4_lT_li,@function
_ZL19rocblas_scal_kernelIlLi256E19rocblas_complex_numIfES1_PKS1_PKPS1_EviT3_lT4_lT_li: ; @_ZL19rocblas_scal_kernelIlLi256E19rocblas_complex_numIfES1_PKS1_PKPS1_EviT3_lT4_lT_li
; %bb.0:
	s_load_dwordx8 s[8:15], s[4:5], 0x8
	s_mov_b32 s2, s7
	v_lshl_or_b32 v0, s6, 8, v0
	s_waitcnt lgkmcnt(0)
	s_mul_i32 s0, s11, s7
	s_mul_hi_u32 s1, s10, s7
	s_add_i32 s1, s1, s0
	s_mul_i32 s0, s10, s7
	s_lshl_b64 s[0:1], s[0:1], 3
	s_add_u32 s8, s8, s0
	s_addc_u32 s9, s9, s1
	s_load_dwordx2 s[0:1], s[8:9], 0x0
	s_load_dword s3, s[4:5], 0x0
	s_waitcnt lgkmcnt(0)
	v_cmp_neq_f32_e64 s[6:7], s0, 1.0
	v_cmp_neq_f32_e64 s[8:9], s1, 0
	s_or_b64 s[6:7], s[6:7], s[8:9]
	v_cmp_gt_u32_e32 vcc, s3, v0
	s_and_b64 s[6:7], vcc, s[6:7]
	s_and_saveexec_b64 s[8:9], s[6:7]
	s_cbranch_execz .LBB146_2
; %bb.1:
	s_load_dwordx2 s[4:5], s[4:5], 0x28
	s_mov_b32 s3, 0
	s_lshl_b64 s[2:3], s[2:3], 3
	s_add_u32 s2, s12, s2
	s_addc_u32 s3, s13, s3
	s_waitcnt lgkmcnt(0)
	v_mad_u64_u32 v[1:2], s[6:7], s4, v0, 0
	s_load_dwordx2 s[2:3], s[2:3], 0x0
	v_mad_u64_u32 v[2:3], s[4:5], s5, v0, v[2:3]
	s_lshl_b64 s[4:5], s[14:15], 3
	s_waitcnt lgkmcnt(0)
	s_add_u32 s2, s2, s4
	v_lshlrev_b64 v[0:1], 3, v[1:2]
	s_addc_u32 s3, s3, s5
	v_mov_b32_e32 v2, s3
	v_add_co_u32_e32 v0, vcc, s2, v0
	v_addc_co_u32_e32 v1, vcc, v2, v1, vcc
	flat_load_dwordx2 v[2:3], v[0:1]
	s_waitcnt vmcnt(0) lgkmcnt(0)
	v_mul_f32_e32 v5, s1, v3
	v_mul_f32_e32 v4, s0, v3
	v_fma_f32 v3, s0, v2, -v5
	v_fmac_f32_e32 v4, s1, v2
	flat_store_dwordx2 v[0:1], v[3:4]
.LBB146_2:
	s_endpgm
	.section	.rodata,"a",@progbits
	.p2align	6, 0x0
	.amdhsa_kernel _ZL19rocblas_scal_kernelIlLi256E19rocblas_complex_numIfES1_PKS1_PKPS1_EviT3_lT4_lT_li
		.amdhsa_group_segment_fixed_size 0
		.amdhsa_private_segment_fixed_size 0
		.amdhsa_kernarg_size 60
		.amdhsa_user_sgpr_count 6
		.amdhsa_user_sgpr_private_segment_buffer 1
		.amdhsa_user_sgpr_dispatch_ptr 0
		.amdhsa_user_sgpr_queue_ptr 0
		.amdhsa_user_sgpr_kernarg_segment_ptr 1
		.amdhsa_user_sgpr_dispatch_id 0
		.amdhsa_user_sgpr_flat_scratch_init 0
		.amdhsa_user_sgpr_private_segment_size 0
		.amdhsa_uses_dynamic_stack 0
		.amdhsa_system_sgpr_private_segment_wavefront_offset 0
		.amdhsa_system_sgpr_workgroup_id_x 1
		.amdhsa_system_sgpr_workgroup_id_y 0
		.amdhsa_system_sgpr_workgroup_id_z 1
		.amdhsa_system_sgpr_workgroup_info 0
		.amdhsa_system_vgpr_workitem_id 0
		.amdhsa_next_free_vgpr 6
		.amdhsa_next_free_sgpr 16
		.amdhsa_reserve_vcc 1
		.amdhsa_reserve_flat_scratch 0
		.amdhsa_float_round_mode_32 0
		.amdhsa_float_round_mode_16_64 0
		.amdhsa_float_denorm_mode_32 3
		.amdhsa_float_denorm_mode_16_64 3
		.amdhsa_dx10_clamp 1
		.amdhsa_ieee_mode 1
		.amdhsa_fp16_overflow 0
		.amdhsa_exception_fp_ieee_invalid_op 0
		.amdhsa_exception_fp_denorm_src 0
		.amdhsa_exception_fp_ieee_div_zero 0
		.amdhsa_exception_fp_ieee_overflow 0
		.amdhsa_exception_fp_ieee_underflow 0
		.amdhsa_exception_fp_ieee_inexact 0
		.amdhsa_exception_int_div_zero 0
	.end_amdhsa_kernel
	.section	.text._ZL19rocblas_scal_kernelIlLi256E19rocblas_complex_numIfES1_PKS1_PKPS1_EviT3_lT4_lT_li,"axG",@progbits,_ZL19rocblas_scal_kernelIlLi256E19rocblas_complex_numIfES1_PKS1_PKPS1_EviT3_lT4_lT_li,comdat
.Lfunc_end146:
	.size	_ZL19rocblas_scal_kernelIlLi256E19rocblas_complex_numIfES1_PKS1_PKPS1_EviT3_lT4_lT_li, .Lfunc_end146-_ZL19rocblas_scal_kernelIlLi256E19rocblas_complex_numIfES1_PKS1_PKPS1_EviT3_lT4_lT_li
                                        ; -- End function
	.set _ZL19rocblas_scal_kernelIlLi256E19rocblas_complex_numIfES1_PKS1_PKPS1_EviT3_lT4_lT_li.num_vgpr, 6
	.set _ZL19rocblas_scal_kernelIlLi256E19rocblas_complex_numIfES1_PKS1_PKPS1_EviT3_lT4_lT_li.num_agpr, 0
	.set _ZL19rocblas_scal_kernelIlLi256E19rocblas_complex_numIfES1_PKS1_PKPS1_EviT3_lT4_lT_li.numbered_sgpr, 16
	.set _ZL19rocblas_scal_kernelIlLi256E19rocblas_complex_numIfES1_PKS1_PKPS1_EviT3_lT4_lT_li.num_named_barrier, 0
	.set _ZL19rocblas_scal_kernelIlLi256E19rocblas_complex_numIfES1_PKS1_PKPS1_EviT3_lT4_lT_li.private_seg_size, 0
	.set _ZL19rocblas_scal_kernelIlLi256E19rocblas_complex_numIfES1_PKS1_PKPS1_EviT3_lT4_lT_li.uses_vcc, 1
	.set _ZL19rocblas_scal_kernelIlLi256E19rocblas_complex_numIfES1_PKS1_PKPS1_EviT3_lT4_lT_li.uses_flat_scratch, 0
	.set _ZL19rocblas_scal_kernelIlLi256E19rocblas_complex_numIfES1_PKS1_PKPS1_EviT3_lT4_lT_li.has_dyn_sized_stack, 0
	.set _ZL19rocblas_scal_kernelIlLi256E19rocblas_complex_numIfES1_PKS1_PKPS1_EviT3_lT4_lT_li.has_recursion, 0
	.set _ZL19rocblas_scal_kernelIlLi256E19rocblas_complex_numIfES1_PKS1_PKPS1_EviT3_lT4_lT_li.has_indirect_call, 0
	.section	.AMDGPU.csdata,"",@progbits
; Kernel info:
; codeLenInByte = 240
; TotalNumSgprs: 20
; NumVgprs: 6
; ScratchSize: 0
; MemoryBound: 0
; FloatMode: 240
; IeeeMode: 1
; LDSByteSize: 0 bytes/workgroup (compile time only)
; SGPRBlocks: 2
; VGPRBlocks: 1
; NumSGPRsForWavesPerEU: 20
; NumVGPRsForWavesPerEU: 6
; Occupancy: 10
; WaveLimiterHint : 1
; COMPUTE_PGM_RSRC2:SCRATCH_EN: 0
; COMPUTE_PGM_RSRC2:USER_SGPR: 6
; COMPUTE_PGM_RSRC2:TRAP_HANDLER: 0
; COMPUTE_PGM_RSRC2:TGID_X_EN: 1
; COMPUTE_PGM_RSRC2:TGID_Y_EN: 0
; COMPUTE_PGM_RSRC2:TGID_Z_EN: 1
; COMPUTE_PGM_RSRC2:TIDIG_COMP_CNT: 0
	.section	.text._ZL19rocblas_scal_kernelIlLi256E19rocblas_complex_numIfES1_S1_PKPS1_EviT3_lT4_lT_li,"axG",@progbits,_ZL19rocblas_scal_kernelIlLi256E19rocblas_complex_numIfES1_S1_PKPS1_EviT3_lT4_lT_li,comdat
	.globl	_ZL19rocblas_scal_kernelIlLi256E19rocblas_complex_numIfES1_S1_PKPS1_EviT3_lT4_lT_li ; -- Begin function _ZL19rocblas_scal_kernelIlLi256E19rocblas_complex_numIfES1_S1_PKPS1_EviT3_lT4_lT_li
	.p2align	8
	.type	_ZL19rocblas_scal_kernelIlLi256E19rocblas_complex_numIfES1_S1_PKPS1_EviT3_lT4_lT_li,@function
_ZL19rocblas_scal_kernelIlLi256E19rocblas_complex_numIfES1_S1_PKPS1_EviT3_lT4_lT_li: ; @_ZL19rocblas_scal_kernelIlLi256E19rocblas_complex_numIfES1_S1_PKPS1_EviT3_lT4_lT_li
; %bb.0:
	s_load_dwordx4 s[0:3], s[4:5], 0x0
	s_mov_b32 s8, s7
	v_lshl_or_b32 v0, s6, 8, v0
	s_mov_b32 s9, 0
	s_waitcnt lgkmcnt(0)
	v_cmp_neq_f32_e64 s[6:7], s1, 1.0
	v_cmp_neq_f32_e64 s[10:11], s2, 0
	s_or_b64 s[6:7], s[6:7], s[10:11]
	v_cmp_gt_u32_e32 vcc, s0, v0
	s_and_b64 s[6:7], vcc, s[6:7]
	s_and_saveexec_b64 s[10:11], s[6:7]
	s_cbranch_execz .LBB147_2
; %bb.1:
	s_load_dwordx2 s[6:7], s[4:5], 0x28
	s_load_dwordx4 s[12:15], s[4:5], 0x18
	s_lshl_b64 s[4:5], s[8:9], 3
	s_waitcnt lgkmcnt(0)
	v_mad_u64_u32 v[1:2], s[8:9], s6, v0, 0
	s_add_u32 s4, s12, s4
	s_addc_u32 s5, s13, s5
	s_load_dwordx2 s[4:5], s[4:5], 0x0
	v_mad_u64_u32 v[2:3], s[6:7], s7, v0, v[2:3]
	s_lshl_b64 s[6:7], s[14:15], 3
	s_waitcnt lgkmcnt(0)
	s_add_u32 s0, s4, s6
	v_lshlrev_b64 v[0:1], 3, v[1:2]
	s_addc_u32 s3, s5, s7
	v_mov_b32_e32 v2, s3
	v_add_co_u32_e32 v0, vcc, s0, v0
	v_addc_co_u32_e32 v1, vcc, v2, v1, vcc
	flat_load_dwordx2 v[2:3], v[0:1]
	s_waitcnt vmcnt(0) lgkmcnt(0)
	v_mul_f32_e32 v5, s2, v3
	v_mul_f32_e32 v4, s1, v3
	v_fma_f32 v3, s1, v2, -v5
	v_fmac_f32_e32 v4, s2, v2
	flat_store_dwordx2 v[0:1], v[3:4]
.LBB147_2:
	s_endpgm
	.section	.rodata,"a",@progbits
	.p2align	6, 0x0
	.amdhsa_kernel _ZL19rocblas_scal_kernelIlLi256E19rocblas_complex_numIfES1_S1_PKPS1_EviT3_lT4_lT_li
		.amdhsa_group_segment_fixed_size 0
		.amdhsa_private_segment_fixed_size 0
		.amdhsa_kernarg_size 60
		.amdhsa_user_sgpr_count 6
		.amdhsa_user_sgpr_private_segment_buffer 1
		.amdhsa_user_sgpr_dispatch_ptr 0
		.amdhsa_user_sgpr_queue_ptr 0
		.amdhsa_user_sgpr_kernarg_segment_ptr 1
		.amdhsa_user_sgpr_dispatch_id 0
		.amdhsa_user_sgpr_flat_scratch_init 0
		.amdhsa_user_sgpr_private_segment_size 0
		.amdhsa_uses_dynamic_stack 0
		.amdhsa_system_sgpr_private_segment_wavefront_offset 0
		.amdhsa_system_sgpr_workgroup_id_x 1
		.amdhsa_system_sgpr_workgroup_id_y 0
		.amdhsa_system_sgpr_workgroup_id_z 1
		.amdhsa_system_sgpr_workgroup_info 0
		.amdhsa_system_vgpr_workitem_id 0
		.amdhsa_next_free_vgpr 6
		.amdhsa_next_free_sgpr 16
		.amdhsa_reserve_vcc 1
		.amdhsa_reserve_flat_scratch 0
		.amdhsa_float_round_mode_32 0
		.amdhsa_float_round_mode_16_64 0
		.amdhsa_float_denorm_mode_32 3
		.amdhsa_float_denorm_mode_16_64 3
		.amdhsa_dx10_clamp 1
		.amdhsa_ieee_mode 1
		.amdhsa_fp16_overflow 0
		.amdhsa_exception_fp_ieee_invalid_op 0
		.amdhsa_exception_fp_denorm_src 0
		.amdhsa_exception_fp_ieee_div_zero 0
		.amdhsa_exception_fp_ieee_overflow 0
		.amdhsa_exception_fp_ieee_underflow 0
		.amdhsa_exception_fp_ieee_inexact 0
		.amdhsa_exception_int_div_zero 0
	.end_amdhsa_kernel
	.section	.text._ZL19rocblas_scal_kernelIlLi256E19rocblas_complex_numIfES1_S1_PKPS1_EviT3_lT4_lT_li,"axG",@progbits,_ZL19rocblas_scal_kernelIlLi256E19rocblas_complex_numIfES1_S1_PKPS1_EviT3_lT4_lT_li,comdat
.Lfunc_end147:
	.size	_ZL19rocblas_scal_kernelIlLi256E19rocblas_complex_numIfES1_S1_PKPS1_EviT3_lT4_lT_li, .Lfunc_end147-_ZL19rocblas_scal_kernelIlLi256E19rocblas_complex_numIfES1_S1_PKPS1_EviT3_lT4_lT_li
                                        ; -- End function
	.set _ZL19rocblas_scal_kernelIlLi256E19rocblas_complex_numIfES1_S1_PKPS1_EviT3_lT4_lT_li.num_vgpr, 6
	.set _ZL19rocblas_scal_kernelIlLi256E19rocblas_complex_numIfES1_S1_PKPS1_EviT3_lT4_lT_li.num_agpr, 0
	.set _ZL19rocblas_scal_kernelIlLi256E19rocblas_complex_numIfES1_S1_PKPS1_EviT3_lT4_lT_li.numbered_sgpr, 16
	.set _ZL19rocblas_scal_kernelIlLi256E19rocblas_complex_numIfES1_S1_PKPS1_EviT3_lT4_lT_li.num_named_barrier, 0
	.set _ZL19rocblas_scal_kernelIlLi256E19rocblas_complex_numIfES1_S1_PKPS1_EviT3_lT4_lT_li.private_seg_size, 0
	.set _ZL19rocblas_scal_kernelIlLi256E19rocblas_complex_numIfES1_S1_PKPS1_EviT3_lT4_lT_li.uses_vcc, 1
	.set _ZL19rocblas_scal_kernelIlLi256E19rocblas_complex_numIfES1_S1_PKPS1_EviT3_lT4_lT_li.uses_flat_scratch, 0
	.set _ZL19rocblas_scal_kernelIlLi256E19rocblas_complex_numIfES1_S1_PKPS1_EviT3_lT4_lT_li.has_dyn_sized_stack, 0
	.set _ZL19rocblas_scal_kernelIlLi256E19rocblas_complex_numIfES1_S1_PKPS1_EviT3_lT4_lT_li.has_recursion, 0
	.set _ZL19rocblas_scal_kernelIlLi256E19rocblas_complex_numIfES1_S1_PKPS1_EviT3_lT4_lT_li.has_indirect_call, 0
	.section	.AMDGPU.csdata,"",@progbits
; Kernel info:
; codeLenInByte = 200
; TotalNumSgprs: 20
; NumVgprs: 6
; ScratchSize: 0
; MemoryBound: 0
; FloatMode: 240
; IeeeMode: 1
; LDSByteSize: 0 bytes/workgroup (compile time only)
; SGPRBlocks: 2
; VGPRBlocks: 1
; NumSGPRsForWavesPerEU: 20
; NumVGPRsForWavesPerEU: 6
; Occupancy: 10
; WaveLimiterHint : 1
; COMPUTE_PGM_RSRC2:SCRATCH_EN: 0
; COMPUTE_PGM_RSRC2:USER_SGPR: 6
; COMPUTE_PGM_RSRC2:TRAP_HANDLER: 0
; COMPUTE_PGM_RSRC2:TGID_X_EN: 1
; COMPUTE_PGM_RSRC2:TGID_Y_EN: 0
; COMPUTE_PGM_RSRC2:TGID_Z_EN: 1
; COMPUTE_PGM_RSRC2:TIDIG_COMP_CNT: 0
	.section	.AMDGPU.gpr_maximums,"",@progbits
	.set amdgpu.max_num_vgpr, 0
	.set amdgpu.max_num_agpr, 0
	.set amdgpu.max_num_sgpr, 0
	.section	.AMDGPU.csdata,"",@progbits
	.type	__hip_cuid_c201554f5ff644f1,@object ; @__hip_cuid_c201554f5ff644f1
	.section	.bss,"aw",@nobits
	.globl	__hip_cuid_c201554f5ff644f1
__hip_cuid_c201554f5ff644f1:
	.byte	0                               ; 0x0
	.size	__hip_cuid_c201554f5ff644f1, 1

	.ident	"AMD clang version 22.0.0git (https://github.com/RadeonOpenCompute/llvm-project roc-7.2.4 26084 f58b06dce1f9c15707c5f808fd002e18c2accf7e)"
	.section	".note.GNU-stack","",@progbits
	.addrsig
	.addrsig_sym __hip_cuid_c201554f5ff644f1
	.amdgpu_metadata
---
amdhsa.kernels:
  - .args:
      - .offset:         0
        .size:           4
        .value_kind:     by_value
      - .address_space:  global
        .offset:         8
        .size:           8
        .value_kind:     global_buffer
      - .offset:         16
        .size:           8
        .value_kind:     by_value
      - .address_space:  global
        .offset:         24
        .size:           8
        .value_kind:     global_buffer
      - .offset:         32
        .size:           8
        .value_kind:     by_value
      - .offset:         40
        .size:           8
        .value_kind:     by_value
      - .offset:         48
        .size:           4
        .value_kind:     by_value
    .group_segment_fixed_size: 0
    .kernarg_segment_align: 8
    .kernarg_segment_size: 52
    .language:       OpenCL C
    .language_version:
      - 2
      - 0
    .max_flat_workgroup_size: 256
    .name:           _ZL22rocblas_sscal_2_kernelILi256EDF16_DF16_PKDF16_PDF16_EviT2_lT3_lli
    .private_segment_fixed_size: 0
    .sgpr_count:     16
    .sgpr_spill_count: 0
    .symbol:         _ZL22rocblas_sscal_2_kernelILi256EDF16_DF16_PKDF16_PDF16_EviT2_lT3_lli.kd
    .uniform_work_group_size: 1
    .uses_dynamic_stack: false
    .vgpr_count:     5
    .vgpr_spill_count: 0
    .wavefront_size: 64
  - .args:
      - .offset:         0
        .size:           4
        .value_kind:     by_value
      - .offset:         4
        .size:           2
        .value_kind:     by_value
      - .offset:         8
        .size:           8
        .value_kind:     by_value
      - .address_space:  global
        .offset:         16
        .size:           8
        .value_kind:     global_buffer
      - .offset:         24
        .size:           8
        .value_kind:     by_value
      - .offset:         32
        .size:           8
        .value_kind:     by_value
      - .offset:         40
        .size:           4
        .value_kind:     by_value
    .group_segment_fixed_size: 0
    .kernarg_segment_align: 8
    .kernarg_segment_size: 44
    .language:       OpenCL C
    .language_version:
      - 2
      - 0
    .max_flat_workgroup_size: 256
    .name:           _ZL22rocblas_sscal_2_kernelILi256EDF16_DF16_DF16_PDF16_EviT2_lT3_lli
    .private_segment_fixed_size: 0
    .sgpr_count:     16
    .sgpr_spill_count: 0
    .symbol:         _ZL22rocblas_sscal_2_kernelILi256EDF16_DF16_DF16_PDF16_EviT2_lT3_lli.kd
    .uniform_work_group_size: 1
    .uses_dynamic_stack: false
    .vgpr_count:     4
    .vgpr_spill_count: 0
    .wavefront_size: 64
  - .args:
      - .offset:         0
        .size:           4
        .value_kind:     by_value
      - .offset:         4
        .size:           4
        .value_kind:     by_value
      - .offset:         8
        .size:           4
        .value_kind:     by_value
      - .address_space:  global
        .offset:         16
        .size:           8
        .value_kind:     global_buffer
      - .offset:         24
        .size:           8
        .value_kind:     by_value
      - .address_space:  global
        .offset:         32
        .size:           8
        .value_kind:     global_buffer
      - .offset:         40
        .size:           8
        .value_kind:     by_value
      - .offset:         48
        .size:           8
        .value_kind:     by_value
      - .offset:         56
        .size:           4
        .value_kind:     by_value
    .group_segment_fixed_size: 0
    .kernarg_segment_align: 8
    .kernarg_segment_size: 60
    .language:       OpenCL C
    .language_version:
      - 2
      - 0
    .max_flat_workgroup_size: 256
    .name:           _ZL26rocblas_hscal_mlt_4_kernelILi256EPKDF16_PDF16_EviiiT0_lT1_lli
    .private_segment_fixed_size: 0
    .sgpr_count:     20
    .sgpr_spill_count: 0
    .symbol:         _ZL26rocblas_hscal_mlt_4_kernelILi256EPKDF16_PDF16_EviiiT0_lT1_lli.kd
    .uniform_work_group_size: 1
    .uses_dynamic_stack: false
    .vgpr_count:     7
    .vgpr_spill_count: 0
    .wavefront_size: 64
  - .args:
      - .offset:         0
        .size:           4
        .value_kind:     by_value
      - .offset:         4
        .size:           4
        .value_kind:     by_value
      - .offset:         8
        .size:           4
        .value_kind:     by_value
      - .offset:         12
        .size:           2
        .value_kind:     by_value
      - .offset:         16
        .size:           8
        .value_kind:     by_value
      - .address_space:  global
        .offset:         24
        .size:           8
        .value_kind:     global_buffer
      - .offset:         32
        .size:           8
        .value_kind:     by_value
      - .offset:         40
        .size:           8
        .value_kind:     by_value
      - .offset:         48
        .size:           4
        .value_kind:     by_value
    .group_segment_fixed_size: 0
    .kernarg_segment_align: 8
    .kernarg_segment_size: 52
    .language:       OpenCL C
    .language_version:
      - 2
      - 0
    .max_flat_workgroup_size: 256
    .name:           _ZL26rocblas_hscal_mlt_4_kernelILi256EDF16_PDF16_EviiiT0_lT1_lli
    .private_segment_fixed_size: 0
    .sgpr_count:     20
    .sgpr_spill_count: 0
    .symbol:         _ZL26rocblas_hscal_mlt_4_kernelILi256EDF16_PDF16_EviiiT0_lT1_lli.kd
    .uniform_work_group_size: 1
    .uses_dynamic_stack: false
    .vgpr_count:     5
    .vgpr_spill_count: 0
    .wavefront_size: 64
  - .args:
      - .offset:         0
        .size:           4
        .value_kind:     by_value
      - .address_space:  global
        .offset:         8
        .size:           8
        .value_kind:     global_buffer
      - .offset:         16
        .size:           8
        .value_kind:     by_value
      - .address_space:  global
        .offset:         24
        .size:           8
        .value_kind:     global_buffer
      - .offset:         32
        .size:           8
        .value_kind:     by_value
      - .offset:         40
        .size:           4
        .value_kind:     by_value
      - .offset:         48
        .size:           8
        .value_kind:     by_value
      - .offset:         56
        .size:           4
        .value_kind:     by_value
    .group_segment_fixed_size: 0
    .kernarg_segment_align: 8
    .kernarg_segment_size: 60
    .language:       OpenCL C
    .language_version:
      - 2
      - 0
    .max_flat_workgroup_size: 256
    .name:           _ZL19rocblas_scal_kernelIiLi256EDF16_DF16_PKDF16_PDF16_EviT3_lT4_lT_li
    .private_segment_fixed_size: 0
    .sgpr_count:     20
    .sgpr_spill_count: 0
    .symbol:         _ZL19rocblas_scal_kernelIiLi256EDF16_DF16_PKDF16_PDF16_EviT3_lT4_lT_li.kd
    .uniform_work_group_size: 1
    .uses_dynamic_stack: false
    .vgpr_count:     5
    .vgpr_spill_count: 0
    .wavefront_size: 64
  - .args:
      - .offset:         0
        .size:           4
        .value_kind:     by_value
      - .offset:         4
        .size:           2
        .value_kind:     by_value
      - .offset:         8
        .size:           8
        .value_kind:     by_value
      - .address_space:  global
        .offset:         16
        .size:           8
        .value_kind:     global_buffer
      - .offset:         24
        .size:           8
        .value_kind:     by_value
      - .offset:         32
        .size:           4
        .value_kind:     by_value
      - .offset:         40
        .size:           8
        .value_kind:     by_value
      - .offset:         48
        .size:           4
        .value_kind:     by_value
    .group_segment_fixed_size: 0
    .kernarg_segment_align: 8
    .kernarg_segment_size: 52
    .language:       OpenCL C
    .language_version:
      - 2
      - 0
    .max_flat_workgroup_size: 256
    .name:           _ZL19rocblas_scal_kernelIiLi256EDF16_DF16_DF16_PDF16_EviT3_lT4_lT_li
    .private_segment_fixed_size: 0
    .sgpr_count:     16
    .sgpr_spill_count: 0
    .symbol:         _ZL19rocblas_scal_kernelIiLi256EDF16_DF16_DF16_PDF16_EviT3_lT4_lT_li.kd
    .uniform_work_group_size: 1
    .uses_dynamic_stack: false
    .vgpr_count:     4
    .vgpr_spill_count: 0
    .wavefront_size: 64
  - .args:
      - .offset:         0
        .size:           4
        .value_kind:     by_value
      - .address_space:  global
        .offset:         8
        .size:           8
        .value_kind:     global_buffer
      - .offset:         16
        .size:           8
        .value_kind:     by_value
      - .address_space:  global
        .offset:         24
        .size:           8
        .value_kind:     global_buffer
      - .offset:         32
        .size:           8
        .value_kind:     by_value
      - .offset:         40
        .size:           8
        .value_kind:     by_value
      - .offset:         48
        .size:           8
        .value_kind:     by_value
      - .offset:         56
        .size:           4
        .value_kind:     by_value
    .group_segment_fixed_size: 0
    .kernarg_segment_align: 8
    .kernarg_segment_size: 60
    .language:       OpenCL C
    .language_version:
      - 2
      - 0
    .max_flat_workgroup_size: 256
    .name:           _ZL19rocblas_scal_kernelIlLi256EDF16_DF16_PKDF16_PDF16_EviT3_lT4_lT_li
    .private_segment_fixed_size: 0
    .sgpr_count:     20
    .sgpr_spill_count: 0
    .symbol:         _ZL19rocblas_scal_kernelIlLi256EDF16_DF16_PKDF16_PDF16_EviT3_lT4_lT_li.kd
    .uniform_work_group_size: 1
    .uses_dynamic_stack: false
    .vgpr_count:     5
    .vgpr_spill_count: 0
    .wavefront_size: 64
  - .args:
      - .offset:         0
        .size:           4
        .value_kind:     by_value
      - .offset:         4
        .size:           2
        .value_kind:     by_value
      - .offset:         8
        .size:           8
        .value_kind:     by_value
      - .address_space:  global
        .offset:         16
        .size:           8
        .value_kind:     global_buffer
      - .offset:         24
        .size:           8
        .value_kind:     by_value
      - .offset:         32
        .size:           8
        .value_kind:     by_value
      - .offset:         40
        .size:           8
        .value_kind:     by_value
      - .offset:         48
        .size:           4
        .value_kind:     by_value
    .group_segment_fixed_size: 0
    .kernarg_segment_align: 8
    .kernarg_segment_size: 52
    .language:       OpenCL C
    .language_version:
      - 2
      - 0
    .max_flat_workgroup_size: 256
    .name:           _ZL19rocblas_scal_kernelIlLi256EDF16_DF16_DF16_PDF16_EviT3_lT4_lT_li
    .private_segment_fixed_size: 0
    .sgpr_count:     20
    .sgpr_spill_count: 0
    .symbol:         _ZL19rocblas_scal_kernelIlLi256EDF16_DF16_DF16_PDF16_EviT3_lT4_lT_li.kd
    .uniform_work_group_size: 1
    .uses_dynamic_stack: false
    .vgpr_count:     4
    .vgpr_spill_count: 0
    .wavefront_size: 64
  - .args:
      - .offset:         0
        .size:           4
        .value_kind:     by_value
      - .address_space:  global
        .offset:         8
        .size:           8
        .value_kind:     global_buffer
      - .offset:         16
        .size:           8
        .value_kind:     by_value
      - .address_space:  global
        .offset:         24
        .size:           8
        .value_kind:     global_buffer
      - .offset:         32
        .size:           8
        .value_kind:     by_value
      - .offset:         40
        .size:           8
        .value_kind:     by_value
      - .offset:         48
        .size:           4
        .value_kind:     by_value
    .group_segment_fixed_size: 0
    .kernarg_segment_align: 8
    .kernarg_segment_size: 52
    .language:       OpenCL C
    .language_version:
      - 2
      - 0
    .max_flat_workgroup_size: 256
    .name:           _ZL22rocblas_sscal_2_kernelILi256EDF16_DF16_PKfPDF16_EviT2_lT3_lli
    .private_segment_fixed_size: 0
    .sgpr_count:     16
    .sgpr_spill_count: 0
    .symbol:         _ZL22rocblas_sscal_2_kernelILi256EDF16_DF16_PKfPDF16_EviT2_lT3_lli.kd
    .uniform_work_group_size: 1
    .uses_dynamic_stack: false
    .vgpr_count:     5
    .vgpr_spill_count: 0
    .wavefront_size: 64
  - .args:
      - .offset:         0
        .size:           4
        .value_kind:     by_value
      - .offset:         4
        .size:           4
        .value_kind:     by_value
      - .offset:         8
        .size:           8
        .value_kind:     by_value
      - .address_space:  global
        .offset:         16
        .size:           8
        .value_kind:     global_buffer
      - .offset:         24
        .size:           8
        .value_kind:     by_value
      - .offset:         32
        .size:           8
        .value_kind:     by_value
      - .offset:         40
        .size:           4
        .value_kind:     by_value
    .group_segment_fixed_size: 0
    .kernarg_segment_align: 8
    .kernarg_segment_size: 44
    .language:       OpenCL C
    .language_version:
      - 2
      - 0
    .max_flat_workgroup_size: 256
    .name:           _ZL22rocblas_sscal_2_kernelILi256EDF16_DF16_fPDF16_EviT2_lT3_lli
    .private_segment_fixed_size: 0
    .sgpr_count:     16
    .sgpr_spill_count: 0
    .symbol:         _ZL22rocblas_sscal_2_kernelILi256EDF16_DF16_fPDF16_EviT2_lT3_lli.kd
    .uniform_work_group_size: 1
    .uses_dynamic_stack: false
    .vgpr_count:     5
    .vgpr_spill_count: 0
    .wavefront_size: 64
  - .args:
      - .offset:         0
        .size:           4
        .value_kind:     by_value
      - .address_space:  global
        .offset:         8
        .size:           8
        .value_kind:     global_buffer
      - .offset:         16
        .size:           8
        .value_kind:     by_value
      - .address_space:  global
        .offset:         24
        .size:           8
        .value_kind:     global_buffer
      - .offset:         32
        .size:           8
        .value_kind:     by_value
      - .offset:         40
        .size:           4
        .value_kind:     by_value
      - .offset:         48
        .size:           8
        .value_kind:     by_value
      - .offset:         56
        .size:           4
        .value_kind:     by_value
    .group_segment_fixed_size: 0
    .kernarg_segment_align: 8
    .kernarg_segment_size: 60
    .language:       OpenCL C
    .language_version:
      - 2
      - 0
    .max_flat_workgroup_size: 256
    .name:           _ZL19rocblas_scal_kernelIiLi256EDF16_DF16_PKfPDF16_EviT3_lT4_lT_li
    .private_segment_fixed_size: 0
    .sgpr_count:     20
    .sgpr_spill_count: 0
    .symbol:         _ZL19rocblas_scal_kernelIiLi256EDF16_DF16_PKfPDF16_EviT3_lT4_lT_li.kd
    .uniform_work_group_size: 1
    .uses_dynamic_stack: false
    .vgpr_count:     4
    .vgpr_spill_count: 0
    .wavefront_size: 64
  - .args:
      - .offset:         0
        .size:           4
        .value_kind:     by_value
      - .offset:         4
        .size:           4
        .value_kind:     by_value
      - .offset:         8
        .size:           8
        .value_kind:     by_value
      - .address_space:  global
        .offset:         16
        .size:           8
        .value_kind:     global_buffer
      - .offset:         24
        .size:           8
        .value_kind:     by_value
      - .offset:         32
        .size:           4
        .value_kind:     by_value
      - .offset:         40
        .size:           8
        .value_kind:     by_value
      - .offset:         48
        .size:           4
        .value_kind:     by_value
    .group_segment_fixed_size: 0
    .kernarg_segment_align: 8
    .kernarg_segment_size: 52
    .language:       OpenCL C
    .language_version:
      - 2
      - 0
    .max_flat_workgroup_size: 256
    .name:           _ZL19rocblas_scal_kernelIiLi256EDF16_DF16_fPDF16_EviT3_lT4_lT_li
    .private_segment_fixed_size: 0
    .sgpr_count:     16
    .sgpr_spill_count: 0
    .symbol:         _ZL19rocblas_scal_kernelIiLi256EDF16_DF16_fPDF16_EviT3_lT4_lT_li.kd
    .uniform_work_group_size: 1
    .uses_dynamic_stack: false
    .vgpr_count:     4
    .vgpr_spill_count: 0
    .wavefront_size: 64
  - .args:
      - .offset:         0
        .size:           4
        .value_kind:     by_value
      - .address_space:  global
        .offset:         8
        .size:           8
        .value_kind:     global_buffer
      - .offset:         16
        .size:           8
        .value_kind:     by_value
      - .address_space:  global
        .offset:         24
        .size:           8
        .value_kind:     global_buffer
      - .offset:         32
        .size:           8
        .value_kind:     by_value
      - .offset:         40
        .size:           8
        .value_kind:     by_value
      - .offset:         48
        .size:           8
        .value_kind:     by_value
      - .offset:         56
        .size:           4
        .value_kind:     by_value
    .group_segment_fixed_size: 0
    .kernarg_segment_align: 8
    .kernarg_segment_size: 60
    .language:       OpenCL C
    .language_version:
      - 2
      - 0
    .max_flat_workgroup_size: 256
    .name:           _ZL19rocblas_scal_kernelIlLi256EDF16_DF16_PKfPDF16_EviT3_lT4_lT_li
    .private_segment_fixed_size: 0
    .sgpr_count:     20
    .sgpr_spill_count: 0
    .symbol:         _ZL19rocblas_scal_kernelIlLi256EDF16_DF16_PKfPDF16_EviT3_lT4_lT_li.kd
    .uniform_work_group_size: 1
    .uses_dynamic_stack: false
    .vgpr_count:     4
    .vgpr_spill_count: 0
    .wavefront_size: 64
  - .args:
      - .offset:         0
        .size:           4
        .value_kind:     by_value
      - .offset:         4
        .size:           4
        .value_kind:     by_value
      - .offset:         8
        .size:           8
        .value_kind:     by_value
      - .address_space:  global
        .offset:         16
        .size:           8
        .value_kind:     global_buffer
      - .offset:         24
        .size:           8
        .value_kind:     by_value
      - .offset:         32
        .size:           8
        .value_kind:     by_value
      - .offset:         40
        .size:           8
        .value_kind:     by_value
      - .offset:         48
        .size:           4
        .value_kind:     by_value
    .group_segment_fixed_size: 0
    .kernarg_segment_align: 8
    .kernarg_segment_size: 52
    .language:       OpenCL C
    .language_version:
      - 2
      - 0
    .max_flat_workgroup_size: 256
    .name:           _ZL19rocblas_scal_kernelIlLi256EDF16_DF16_fPDF16_EviT3_lT4_lT_li
    .private_segment_fixed_size: 0
    .sgpr_count:     20
    .sgpr_spill_count: 0
    .symbol:         _ZL19rocblas_scal_kernelIlLi256EDF16_DF16_fPDF16_EviT3_lT4_lT_li.kd
    .uniform_work_group_size: 1
    .uses_dynamic_stack: false
    .vgpr_count:     4
    .vgpr_spill_count: 0
    .wavefront_size: 64
  - .args:
      - .offset:         0
        .size:           4
        .value_kind:     by_value
      - .address_space:  global
        .offset:         8
        .size:           8
        .value_kind:     global_buffer
      - .offset:         16
        .size:           8
        .value_kind:     by_value
      - .address_space:  global
        .offset:         24
        .size:           8
        .value_kind:     global_buffer
      - .offset:         32
        .size:           8
        .value_kind:     by_value
      - .offset:         40
        .size:           8
        .value_kind:     by_value
      - .offset:         48
        .size:           4
        .value_kind:     by_value
    .group_segment_fixed_size: 0
    .kernarg_segment_align: 8
    .kernarg_segment_size: 52
    .language:       OpenCL C
    .language_version:
      - 2
      - 0
    .max_flat_workgroup_size: 256
    .name:           _ZL22rocblas_sscal_2_kernelILi256EffPKfPfEviT2_lT3_lli
    .private_segment_fixed_size: 0
    .sgpr_count:     16
    .sgpr_spill_count: 0
    .symbol:         _ZL22rocblas_sscal_2_kernelILi256EffPKfPfEviT2_lT3_lli.kd
    .uniform_work_group_size: 1
    .uses_dynamic_stack: false
    .vgpr_count:     5
    .vgpr_spill_count: 0
    .wavefront_size: 64
  - .args:
      - .offset:         0
        .size:           4
        .value_kind:     by_value
      - .offset:         4
        .size:           4
        .value_kind:     by_value
      - .offset:         8
        .size:           8
        .value_kind:     by_value
      - .address_space:  global
        .offset:         16
        .size:           8
        .value_kind:     global_buffer
      - .offset:         24
        .size:           8
        .value_kind:     by_value
      - .offset:         32
        .size:           8
        .value_kind:     by_value
      - .offset:         40
        .size:           4
        .value_kind:     by_value
    .group_segment_fixed_size: 0
    .kernarg_segment_align: 8
    .kernarg_segment_size: 44
    .language:       OpenCL C
    .language_version:
      - 2
      - 0
    .max_flat_workgroup_size: 256
    .name:           _ZL22rocblas_sscal_2_kernelILi256EfffPfEviT2_lT3_lli
    .private_segment_fixed_size: 0
    .sgpr_count:     16
    .sgpr_spill_count: 0
    .symbol:         _ZL22rocblas_sscal_2_kernelILi256EfffPfEviT2_lT3_lli.kd
    .uniform_work_group_size: 1
    .uses_dynamic_stack: false
    .vgpr_count:     5
    .vgpr_spill_count: 0
    .wavefront_size: 64
  - .args:
      - .offset:         0
        .size:           4
        .value_kind:     by_value
      - .address_space:  global
        .offset:         8
        .size:           8
        .value_kind:     global_buffer
      - .offset:         16
        .size:           8
        .value_kind:     by_value
      - .address_space:  global
        .offset:         24
        .size:           8
        .value_kind:     global_buffer
      - .offset:         32
        .size:           8
        .value_kind:     by_value
      - .offset:         40
        .size:           4
        .value_kind:     by_value
      - .offset:         48
        .size:           8
        .value_kind:     by_value
      - .offset:         56
        .size:           4
        .value_kind:     by_value
    .group_segment_fixed_size: 0
    .kernarg_segment_align: 8
    .kernarg_segment_size: 60
    .language:       OpenCL C
    .language_version:
      - 2
      - 0
    .max_flat_workgroup_size: 256
    .name:           _ZL19rocblas_scal_kernelIiLi256EffPKfPfEviT3_lT4_lT_li
    .private_segment_fixed_size: 0
    .sgpr_count:     20
    .sgpr_spill_count: 0
    .symbol:         _ZL19rocblas_scal_kernelIiLi256EffPKfPfEviT3_lT4_lT_li.kd
    .uniform_work_group_size: 1
    .uses_dynamic_stack: false
    .vgpr_count:     4
    .vgpr_spill_count: 0
    .wavefront_size: 64
  - .args:
      - .offset:         0
        .size:           4
        .value_kind:     by_value
      - .offset:         4
        .size:           4
        .value_kind:     by_value
      - .offset:         8
        .size:           8
        .value_kind:     by_value
      - .address_space:  global
        .offset:         16
        .size:           8
        .value_kind:     global_buffer
      - .offset:         24
        .size:           8
        .value_kind:     by_value
      - .offset:         32
        .size:           4
        .value_kind:     by_value
      - .offset:         40
        .size:           8
        .value_kind:     by_value
      - .offset:         48
        .size:           4
        .value_kind:     by_value
    .group_segment_fixed_size: 0
    .kernarg_segment_align: 8
    .kernarg_segment_size: 52
    .language:       OpenCL C
    .language_version:
      - 2
      - 0
    .max_flat_workgroup_size: 256
    .name:           _ZL19rocblas_scal_kernelIiLi256EfffPfEviT3_lT4_lT_li
    .private_segment_fixed_size: 0
    .sgpr_count:     16
    .sgpr_spill_count: 0
    .symbol:         _ZL19rocblas_scal_kernelIiLi256EfffPfEviT3_lT4_lT_li.kd
    .uniform_work_group_size: 1
    .uses_dynamic_stack: false
    .vgpr_count:     4
    .vgpr_spill_count: 0
    .wavefront_size: 64
  - .args:
      - .offset:         0
        .size:           4
        .value_kind:     by_value
      - .address_space:  global
        .offset:         8
        .size:           8
        .value_kind:     global_buffer
      - .offset:         16
        .size:           8
        .value_kind:     by_value
      - .address_space:  global
        .offset:         24
        .size:           8
        .value_kind:     global_buffer
      - .offset:         32
        .size:           8
        .value_kind:     by_value
      - .offset:         40
        .size:           8
        .value_kind:     by_value
      - .offset:         48
        .size:           8
        .value_kind:     by_value
      - .offset:         56
        .size:           4
        .value_kind:     by_value
    .group_segment_fixed_size: 0
    .kernarg_segment_align: 8
    .kernarg_segment_size: 60
    .language:       OpenCL C
    .language_version:
      - 2
      - 0
    .max_flat_workgroup_size: 256
    .name:           _ZL19rocblas_scal_kernelIlLi256EffPKfPfEviT3_lT4_lT_li
    .private_segment_fixed_size: 0
    .sgpr_count:     20
    .sgpr_spill_count: 0
    .symbol:         _ZL19rocblas_scal_kernelIlLi256EffPKfPfEviT3_lT4_lT_li.kd
    .uniform_work_group_size: 1
    .uses_dynamic_stack: false
    .vgpr_count:     4
    .vgpr_spill_count: 0
    .wavefront_size: 64
  - .args:
      - .offset:         0
        .size:           4
        .value_kind:     by_value
      - .offset:         4
        .size:           4
        .value_kind:     by_value
      - .offset:         8
        .size:           8
        .value_kind:     by_value
      - .address_space:  global
        .offset:         16
        .size:           8
        .value_kind:     global_buffer
      - .offset:         24
        .size:           8
        .value_kind:     by_value
      - .offset:         32
        .size:           8
        .value_kind:     by_value
      - .offset:         40
        .size:           8
        .value_kind:     by_value
      - .offset:         48
        .size:           4
        .value_kind:     by_value
    .group_segment_fixed_size: 0
    .kernarg_segment_align: 8
    .kernarg_segment_size: 52
    .language:       OpenCL C
    .language_version:
      - 2
      - 0
    .max_flat_workgroup_size: 256
    .name:           _ZL19rocblas_scal_kernelIlLi256EfffPfEviT3_lT4_lT_li
    .private_segment_fixed_size: 0
    .sgpr_count:     20
    .sgpr_spill_count: 0
    .symbol:         _ZL19rocblas_scal_kernelIlLi256EfffPfEviT3_lT4_lT_li.kd
    .uniform_work_group_size: 1
    .uses_dynamic_stack: false
    .vgpr_count:     4
    .vgpr_spill_count: 0
    .wavefront_size: 64
  - .args:
      - .offset:         0
        .size:           4
        .value_kind:     by_value
      - .address_space:  global
        .offset:         8
        .size:           8
        .value_kind:     global_buffer
      - .offset:         16
        .size:           8
        .value_kind:     by_value
      - .address_space:  global
        .offset:         24
        .size:           8
        .value_kind:     global_buffer
      - .offset:         32
        .size:           8
        .value_kind:     by_value
      - .offset:         40
        .size:           8
        .value_kind:     by_value
      - .offset:         48
        .size:           4
        .value_kind:     by_value
    .group_segment_fixed_size: 0
    .kernarg_segment_align: 8
    .kernarg_segment_size: 52
    .language:       OpenCL C
    .language_version:
      - 2
      - 0
    .max_flat_workgroup_size: 256
    .name:           _ZL22rocblas_sscal_2_kernelILi256E19rocblas_complex_numIdES1_PKS1_PS1_EviT2_lT3_lli
    .private_segment_fixed_size: 0
    .sgpr_count:     20
    .sgpr_spill_count: 0
    .symbol:         _ZL22rocblas_sscal_2_kernelILi256E19rocblas_complex_numIdES1_PKS1_PS1_EviT2_lT3_lli.kd
    .uniform_work_group_size: 1
    .uses_dynamic_stack: false
    .vgpr_count:     17
    .vgpr_spill_count: 0
    .wavefront_size: 64
  - .args:
      - .offset:         0
        .size:           4
        .value_kind:     by_value
      - .offset:         8
        .size:           16
        .value_kind:     by_value
      - .offset:         24
        .size:           8
        .value_kind:     by_value
      - .address_space:  global
        .offset:         32
        .size:           8
        .value_kind:     global_buffer
      - .offset:         40
        .size:           8
        .value_kind:     by_value
      - .offset:         48
        .size:           8
        .value_kind:     by_value
      - .offset:         56
        .size:           4
        .value_kind:     by_value
    .group_segment_fixed_size: 0
    .kernarg_segment_align: 8
    .kernarg_segment_size: 60
    .language:       OpenCL C
    .language_version:
      - 2
      - 0
    .max_flat_workgroup_size: 256
    .name:           _ZL22rocblas_sscal_2_kernelILi256E19rocblas_complex_numIdES1_S1_PS1_EviT2_lT3_lli
    .private_segment_fixed_size: 0
    .sgpr_count:     20
    .sgpr_spill_count: 0
    .symbol:         _ZL22rocblas_sscal_2_kernelILi256E19rocblas_complex_numIdES1_S1_PS1_EviT2_lT3_lli.kd
    .uniform_work_group_size: 1
    .uses_dynamic_stack: false
    .vgpr_count:     17
    .vgpr_spill_count: 0
    .wavefront_size: 64
  - .args:
      - .offset:         0
        .size:           4
        .value_kind:     by_value
      - .address_space:  global
        .offset:         8
        .size:           8
        .value_kind:     global_buffer
      - .offset:         16
        .size:           8
        .value_kind:     by_value
      - .address_space:  global
        .offset:         24
        .size:           8
        .value_kind:     global_buffer
      - .offset:         32
        .size:           8
        .value_kind:     by_value
      - .offset:         40
        .size:           4
        .value_kind:     by_value
      - .offset:         48
        .size:           8
        .value_kind:     by_value
      - .offset:         56
        .size:           4
        .value_kind:     by_value
    .group_segment_fixed_size: 0
    .kernarg_segment_align: 8
    .kernarg_segment_size: 60
    .language:       OpenCL C
    .language_version:
      - 2
      - 0
    .max_flat_workgroup_size: 256
    .name:           _ZL19rocblas_scal_kernelIiLi256E19rocblas_complex_numIdES1_PKS1_PS1_EviT3_lT4_lT_li
    .private_segment_fixed_size: 0
    .sgpr_count:     21
    .sgpr_spill_count: 0
    .symbol:         _ZL19rocblas_scal_kernelIiLi256E19rocblas_complex_numIdES1_PKS1_PS1_EviT3_lT4_lT_li.kd
    .uniform_work_group_size: 1
    .uses_dynamic_stack: false
    .vgpr_count:     10
    .vgpr_spill_count: 0
    .wavefront_size: 64
  - .args:
      - .offset:         0
        .size:           4
        .value_kind:     by_value
      - .offset:         8
        .size:           16
        .value_kind:     by_value
      - .offset:         24
        .size:           8
        .value_kind:     by_value
      - .address_space:  global
        .offset:         32
        .size:           8
        .value_kind:     global_buffer
      - .offset:         40
        .size:           8
        .value_kind:     by_value
      - .offset:         48
        .size:           4
        .value_kind:     by_value
      - .offset:         56
        .size:           8
        .value_kind:     by_value
      - .offset:         64
        .size:           4
        .value_kind:     by_value
    .group_segment_fixed_size: 0
    .kernarg_segment_align: 8
    .kernarg_segment_size: 68
    .language:       OpenCL C
    .language_version:
      - 2
      - 0
    .max_flat_workgroup_size: 256
    .name:           _ZL19rocblas_scal_kernelIiLi256E19rocblas_complex_numIdES1_S1_PS1_EviT3_lT4_lT_li
    .private_segment_fixed_size: 0
    .sgpr_count:     19
    .sgpr_spill_count: 0
    .symbol:         _ZL19rocblas_scal_kernelIiLi256E19rocblas_complex_numIdES1_S1_PS1_EviT3_lT4_lT_li.kd
    .uniform_work_group_size: 1
    .uses_dynamic_stack: false
    .vgpr_count:     10
    .vgpr_spill_count: 0
    .wavefront_size: 64
  - .args:
      - .offset:         0
        .size:           4
        .value_kind:     by_value
      - .address_space:  global
        .offset:         8
        .size:           8
        .value_kind:     global_buffer
      - .offset:         16
        .size:           8
        .value_kind:     by_value
      - .address_space:  global
        .offset:         24
        .size:           8
        .value_kind:     global_buffer
      - .offset:         32
        .size:           8
        .value_kind:     by_value
      - .offset:         40
        .size:           8
        .value_kind:     by_value
      - .offset:         48
        .size:           8
        .value_kind:     by_value
      - .offset:         56
        .size:           4
        .value_kind:     by_value
    .group_segment_fixed_size: 0
    .kernarg_segment_align: 8
    .kernarg_segment_size: 60
    .language:       OpenCL C
    .language_version:
      - 2
      - 0
    .max_flat_workgroup_size: 256
    .name:           _ZL19rocblas_scal_kernelIlLi256E19rocblas_complex_numIdES1_PKS1_PS1_EviT3_lT4_lT_li
    .private_segment_fixed_size: 0
    .sgpr_count:     21
    .sgpr_spill_count: 0
    .symbol:         _ZL19rocblas_scal_kernelIlLi256E19rocblas_complex_numIdES1_PKS1_PS1_EviT3_lT4_lT_li.kd
    .uniform_work_group_size: 1
    .uses_dynamic_stack: false
    .vgpr_count:     10
    .vgpr_spill_count: 0
    .wavefront_size: 64
  - .args:
      - .offset:         0
        .size:           4
        .value_kind:     by_value
      - .offset:         8
        .size:           16
        .value_kind:     by_value
      - .offset:         24
        .size:           8
        .value_kind:     by_value
      - .address_space:  global
        .offset:         32
        .size:           8
        .value_kind:     global_buffer
      - .offset:         40
        .size:           8
        .value_kind:     by_value
      - .offset:         48
        .size:           8
        .value_kind:     by_value
      - .offset:         56
        .size:           8
        .value_kind:     by_value
      - .offset:         64
        .size:           4
        .value_kind:     by_value
    .group_segment_fixed_size: 0
    .kernarg_segment_align: 8
    .kernarg_segment_size: 68
    .language:       OpenCL C
    .language_version:
      - 2
      - 0
    .max_flat_workgroup_size: 256
    .name:           _ZL19rocblas_scal_kernelIlLi256E19rocblas_complex_numIdES1_S1_PS1_EviT3_lT4_lT_li
    .private_segment_fixed_size: 0
    .sgpr_count:     20
    .sgpr_spill_count: 0
    .symbol:         _ZL19rocblas_scal_kernelIlLi256E19rocblas_complex_numIdES1_S1_PS1_EviT3_lT4_lT_li.kd
    .uniform_work_group_size: 1
    .uses_dynamic_stack: false
    .vgpr_count:     10
    .vgpr_spill_count: 0
    .wavefront_size: 64
  - .args:
      - .offset:         0
        .size:           4
        .value_kind:     by_value
      - .address_space:  global
        .offset:         8
        .size:           8
        .value_kind:     global_buffer
      - .offset:         16
        .size:           8
        .value_kind:     by_value
      - .address_space:  global
        .offset:         24
        .size:           8
        .value_kind:     global_buffer
      - .offset:         32
        .size:           8
        .value_kind:     by_value
      - .offset:         40
        .size:           8
        .value_kind:     by_value
      - .offset:         48
        .size:           4
        .value_kind:     by_value
    .group_segment_fixed_size: 0
    .kernarg_segment_align: 8
    .kernarg_segment_size: 52
    .language:       OpenCL C
    .language_version:
      - 2
      - 0
    .max_flat_workgroup_size: 256
    .name:           _ZL22rocblas_sscal_2_kernelILi256E19rocblas_complex_numIfES1_PKfPS1_EviT2_lT3_lli
    .private_segment_fixed_size: 0
    .sgpr_count:     16
    .sgpr_spill_count: 0
    .symbol:         _ZL22rocblas_sscal_2_kernelILi256E19rocblas_complex_numIfES1_PKfPS1_EviT2_lT3_lli.kd
    .uniform_work_group_size: 1
    .uses_dynamic_stack: false
    .vgpr_count:     10
    .vgpr_spill_count: 0
    .wavefront_size: 64
  - .args:
      - .offset:         0
        .size:           4
        .value_kind:     by_value
      - .offset:         4
        .size:           4
        .value_kind:     by_value
      - .offset:         8
        .size:           8
        .value_kind:     by_value
      - .address_space:  global
        .offset:         16
        .size:           8
        .value_kind:     global_buffer
      - .offset:         24
        .size:           8
        .value_kind:     by_value
      - .offset:         32
        .size:           8
        .value_kind:     by_value
      - .offset:         40
        .size:           4
        .value_kind:     by_value
    .group_segment_fixed_size: 0
    .kernarg_segment_align: 8
    .kernarg_segment_size: 44
    .language:       OpenCL C
    .language_version:
      - 2
      - 0
    .max_flat_workgroup_size: 256
    .name:           _ZL22rocblas_sscal_2_kernelILi256E19rocblas_complex_numIfES1_fPS1_EviT2_lT3_lli
    .private_segment_fixed_size: 0
    .sgpr_count:     16
    .sgpr_spill_count: 0
    .symbol:         _ZL22rocblas_sscal_2_kernelILi256E19rocblas_complex_numIfES1_fPS1_EviT2_lT3_lli.kd
    .uniform_work_group_size: 1
    .uses_dynamic_stack: false
    .vgpr_count:     10
    .vgpr_spill_count: 0
    .wavefront_size: 64
  - .args:
      - .offset:         0
        .size:           4
        .value_kind:     by_value
      - .address_space:  global
        .offset:         8
        .size:           8
        .value_kind:     global_buffer
      - .offset:         16
        .size:           8
        .value_kind:     by_value
      - .address_space:  global
        .offset:         24
        .size:           8
        .value_kind:     global_buffer
      - .offset:         32
        .size:           8
        .value_kind:     by_value
      - .offset:         40
        .size:           4
        .value_kind:     by_value
      - .offset:         48
        .size:           8
        .value_kind:     by_value
      - .offset:         56
        .size:           4
        .value_kind:     by_value
    .group_segment_fixed_size: 0
    .kernarg_segment_align: 8
    .kernarg_segment_size: 60
    .language:       OpenCL C
    .language_version:
      - 2
      - 0
    .max_flat_workgroup_size: 256
    .name:           _ZL19rocblas_scal_kernelIiLi256E19rocblas_complex_numIfES1_PKfPS1_EviT3_lT4_lT_li
    .private_segment_fixed_size: 0
    .sgpr_count:     20
    .sgpr_spill_count: 0
    .symbol:         _ZL19rocblas_scal_kernelIiLi256E19rocblas_complex_numIfES1_PKfPS1_EviT3_lT4_lT_li.kd
    .uniform_work_group_size: 1
    .uses_dynamic_stack: false
    .vgpr_count:     6
    .vgpr_spill_count: 0
    .wavefront_size: 64
  - .args:
      - .offset:         0
        .size:           4
        .value_kind:     by_value
      - .offset:         4
        .size:           4
        .value_kind:     by_value
      - .offset:         8
        .size:           8
        .value_kind:     by_value
      - .address_space:  global
        .offset:         16
        .size:           8
        .value_kind:     global_buffer
      - .offset:         24
        .size:           8
        .value_kind:     by_value
      - .offset:         32
        .size:           4
        .value_kind:     by_value
      - .offset:         40
        .size:           8
        .value_kind:     by_value
      - .offset:         48
        .size:           4
        .value_kind:     by_value
    .group_segment_fixed_size: 0
    .kernarg_segment_align: 8
    .kernarg_segment_size: 52
    .language:       OpenCL C
    .language_version:
      - 2
      - 0
    .max_flat_workgroup_size: 256
    .name:           _ZL19rocblas_scal_kernelIiLi256E19rocblas_complex_numIfES1_fPS1_EviT3_lT4_lT_li
    .private_segment_fixed_size: 0
    .sgpr_count:     16
    .sgpr_spill_count: 0
    .symbol:         _ZL19rocblas_scal_kernelIiLi256E19rocblas_complex_numIfES1_fPS1_EviT3_lT4_lT_li.kd
    .uniform_work_group_size: 1
    .uses_dynamic_stack: false
    .vgpr_count:     6
    .vgpr_spill_count: 0
    .wavefront_size: 64
  - .args:
      - .offset:         0
        .size:           4
        .value_kind:     by_value
      - .address_space:  global
        .offset:         8
        .size:           8
        .value_kind:     global_buffer
      - .offset:         16
        .size:           8
        .value_kind:     by_value
      - .address_space:  global
        .offset:         24
        .size:           8
        .value_kind:     global_buffer
      - .offset:         32
        .size:           8
        .value_kind:     by_value
      - .offset:         40
        .size:           8
        .value_kind:     by_value
      - .offset:         48
        .size:           8
        .value_kind:     by_value
      - .offset:         56
        .size:           4
        .value_kind:     by_value
    .group_segment_fixed_size: 0
    .kernarg_segment_align: 8
    .kernarg_segment_size: 60
    .language:       OpenCL C
    .language_version:
      - 2
      - 0
    .max_flat_workgroup_size: 256
    .name:           _ZL19rocblas_scal_kernelIlLi256E19rocblas_complex_numIfES1_PKfPS1_EviT3_lT4_lT_li
    .private_segment_fixed_size: 0
    .sgpr_count:     20
    .sgpr_spill_count: 0
    .symbol:         _ZL19rocblas_scal_kernelIlLi256E19rocblas_complex_numIfES1_PKfPS1_EviT3_lT4_lT_li.kd
    .uniform_work_group_size: 1
    .uses_dynamic_stack: false
    .vgpr_count:     6
    .vgpr_spill_count: 0
    .wavefront_size: 64
  - .args:
      - .offset:         0
        .size:           4
        .value_kind:     by_value
      - .offset:         4
        .size:           4
        .value_kind:     by_value
      - .offset:         8
        .size:           8
        .value_kind:     by_value
      - .address_space:  global
        .offset:         16
        .size:           8
        .value_kind:     global_buffer
      - .offset:         24
        .size:           8
        .value_kind:     by_value
      - .offset:         32
        .size:           8
        .value_kind:     by_value
      - .offset:         40
        .size:           8
        .value_kind:     by_value
      - .offset:         48
        .size:           4
        .value_kind:     by_value
    .group_segment_fixed_size: 0
    .kernarg_segment_align: 8
    .kernarg_segment_size: 52
    .language:       OpenCL C
    .language_version:
      - 2
      - 0
    .max_flat_workgroup_size: 256
    .name:           _ZL19rocblas_scal_kernelIlLi256E19rocblas_complex_numIfES1_fPS1_EviT3_lT4_lT_li
    .private_segment_fixed_size: 0
    .sgpr_count:     20
    .sgpr_spill_count: 0
    .symbol:         _ZL19rocblas_scal_kernelIlLi256E19rocblas_complex_numIfES1_fPS1_EviT3_lT4_lT_li.kd
    .uniform_work_group_size: 1
    .uses_dynamic_stack: false
    .vgpr_count:     6
    .vgpr_spill_count: 0
    .wavefront_size: 64
  - .args:
      - .offset:         0
        .size:           4
        .value_kind:     by_value
      - .address_space:  global
        .offset:         8
        .size:           8
        .value_kind:     global_buffer
      - .offset:         16
        .size:           8
        .value_kind:     by_value
      - .address_space:  global
        .offset:         24
        .size:           8
        .value_kind:     global_buffer
      - .offset:         32
        .size:           8
        .value_kind:     by_value
      - .offset:         40
        .size:           8
        .value_kind:     by_value
      - .offset:         48
        .size:           4
        .value_kind:     by_value
    .group_segment_fixed_size: 0
    .kernarg_segment_align: 8
    .kernarg_segment_size: 52
    .language:       OpenCL C
    .language_version:
      - 2
      - 0
    .max_flat_workgroup_size: 256
    .name:           _ZL22rocblas_sscal_2_kernelILi256E19rocblas_complex_numIdES1_PKdPS1_EviT2_lT3_lli
    .private_segment_fixed_size: 0
    .sgpr_count:     20
    .sgpr_spill_count: 0
    .symbol:         _ZL22rocblas_sscal_2_kernelILi256E19rocblas_complex_numIdES1_PKdPS1_EviT2_lT3_lli.kd
    .uniform_work_group_size: 1
    .uses_dynamic_stack: false
    .vgpr_count:     17
    .vgpr_spill_count: 0
    .wavefront_size: 64
  - .args:
      - .offset:         0
        .size:           4
        .value_kind:     by_value
      - .offset:         8
        .size:           8
        .value_kind:     by_value
      - .offset:         16
        .size:           8
        .value_kind:     by_value
      - .address_space:  global
        .offset:         24
        .size:           8
        .value_kind:     global_buffer
      - .offset:         32
        .size:           8
        .value_kind:     by_value
      - .offset:         40
        .size:           8
        .value_kind:     by_value
      - .offset:         48
        .size:           4
        .value_kind:     by_value
    .group_segment_fixed_size: 0
    .kernarg_segment_align: 8
    .kernarg_segment_size: 52
    .language:       OpenCL C
    .language_version:
      - 2
      - 0
    .max_flat_workgroup_size: 256
    .name:           _ZL22rocblas_sscal_2_kernelILi256E19rocblas_complex_numIdES1_dPS1_EviT2_lT3_lli
    .private_segment_fixed_size: 0
    .sgpr_count:     20
    .sgpr_spill_count: 0
    .symbol:         _ZL22rocblas_sscal_2_kernelILi256E19rocblas_complex_numIdES1_dPS1_EviT2_lT3_lli.kd
    .uniform_work_group_size: 1
    .uses_dynamic_stack: false
    .vgpr_count:     17
    .vgpr_spill_count: 0
    .wavefront_size: 64
  - .args:
      - .offset:         0
        .size:           4
        .value_kind:     by_value
      - .address_space:  global
        .offset:         8
        .size:           8
        .value_kind:     global_buffer
      - .offset:         16
        .size:           8
        .value_kind:     by_value
      - .address_space:  global
        .offset:         24
        .size:           8
        .value_kind:     global_buffer
      - .offset:         32
        .size:           8
        .value_kind:     by_value
      - .offset:         40
        .size:           4
        .value_kind:     by_value
      - .offset:         48
        .size:           8
        .value_kind:     by_value
      - .offset:         56
        .size:           4
        .value_kind:     by_value
    .group_segment_fixed_size: 0
    .kernarg_segment_align: 8
    .kernarg_segment_size: 60
    .language:       OpenCL C
    .language_version:
      - 2
      - 0
    .max_flat_workgroup_size: 256
    .name:           _ZL19rocblas_scal_kernelIiLi256E19rocblas_complex_numIdES1_PKdPS1_EviT3_lT4_lT_li
    .private_segment_fixed_size: 0
    .sgpr_count:     20
    .sgpr_spill_count: 0
    .symbol:         _ZL19rocblas_scal_kernelIiLi256E19rocblas_complex_numIdES1_PKdPS1_EviT3_lT4_lT_li.kd
    .uniform_work_group_size: 1
    .uses_dynamic_stack: false
    .vgpr_count:     10
    .vgpr_spill_count: 0
    .wavefront_size: 64
  - .args:
      - .offset:         0
        .size:           4
        .value_kind:     by_value
      - .offset:         8
        .size:           8
        .value_kind:     by_value
      - .offset:         16
        .size:           8
        .value_kind:     by_value
      - .address_space:  global
        .offset:         24
        .size:           8
        .value_kind:     global_buffer
      - .offset:         32
        .size:           8
        .value_kind:     by_value
      - .offset:         40
        .size:           4
        .value_kind:     by_value
      - .offset:         48
        .size:           8
        .value_kind:     by_value
      - .offset:         56
        .size:           4
        .value_kind:     by_value
    .group_segment_fixed_size: 0
    .kernarg_segment_align: 8
    .kernarg_segment_size: 60
    .language:       OpenCL C
    .language_version:
      - 2
      - 0
    .max_flat_workgroup_size: 256
    .name:           _ZL19rocblas_scal_kernelIiLi256E19rocblas_complex_numIdES1_dPS1_EviT3_lT4_lT_li
    .private_segment_fixed_size: 0
    .sgpr_count:     17
    .sgpr_spill_count: 0
    .symbol:         _ZL19rocblas_scal_kernelIiLi256E19rocblas_complex_numIdES1_dPS1_EviT3_lT4_lT_li.kd
    .uniform_work_group_size: 1
    .uses_dynamic_stack: false
    .vgpr_count:     10
    .vgpr_spill_count: 0
    .wavefront_size: 64
  - .args:
      - .offset:         0
        .size:           4
        .value_kind:     by_value
      - .address_space:  global
        .offset:         8
        .size:           8
        .value_kind:     global_buffer
      - .offset:         16
        .size:           8
        .value_kind:     by_value
      - .address_space:  global
        .offset:         24
        .size:           8
        .value_kind:     global_buffer
      - .offset:         32
        .size:           8
        .value_kind:     by_value
      - .offset:         40
        .size:           8
        .value_kind:     by_value
      - .offset:         48
        .size:           8
        .value_kind:     by_value
      - .offset:         56
        .size:           4
        .value_kind:     by_value
    .group_segment_fixed_size: 0
    .kernarg_segment_align: 8
    .kernarg_segment_size: 60
    .language:       OpenCL C
    .language_version:
      - 2
      - 0
    .max_flat_workgroup_size: 256
    .name:           _ZL19rocblas_scal_kernelIlLi256E19rocblas_complex_numIdES1_PKdPS1_EviT3_lT4_lT_li
    .private_segment_fixed_size: 0
    .sgpr_count:     20
    .sgpr_spill_count: 0
    .symbol:         _ZL19rocblas_scal_kernelIlLi256E19rocblas_complex_numIdES1_PKdPS1_EviT3_lT4_lT_li.kd
    .uniform_work_group_size: 1
    .uses_dynamic_stack: false
    .vgpr_count:     10
    .vgpr_spill_count: 0
    .wavefront_size: 64
  - .args:
      - .offset:         0
        .size:           4
        .value_kind:     by_value
      - .offset:         8
        .size:           8
        .value_kind:     by_value
      - .offset:         16
        .size:           8
        .value_kind:     by_value
      - .address_space:  global
        .offset:         24
        .size:           8
        .value_kind:     global_buffer
      - .offset:         32
        .size:           8
        .value_kind:     by_value
      - .offset:         40
        .size:           8
        .value_kind:     by_value
      - .offset:         48
        .size:           8
        .value_kind:     by_value
      - .offset:         56
        .size:           4
        .value_kind:     by_value
    .group_segment_fixed_size: 0
    .kernarg_segment_align: 8
    .kernarg_segment_size: 60
    .language:       OpenCL C
    .language_version:
      - 2
      - 0
    .max_flat_workgroup_size: 256
    .name:           _ZL19rocblas_scal_kernelIlLi256E19rocblas_complex_numIdES1_dPS1_EviT3_lT4_lT_li
    .private_segment_fixed_size: 0
    .sgpr_count:     20
    .sgpr_spill_count: 0
    .symbol:         _ZL19rocblas_scal_kernelIlLi256E19rocblas_complex_numIdES1_dPS1_EviT3_lT4_lT_li.kd
    .uniform_work_group_size: 1
    .uses_dynamic_stack: false
    .vgpr_count:     10
    .vgpr_spill_count: 0
    .wavefront_size: 64
  - .args:
      - .offset:         0
        .size:           4
        .value_kind:     by_value
      - .address_space:  global
        .offset:         8
        .size:           8
        .value_kind:     global_buffer
      - .offset:         16
        .size:           8
        .value_kind:     by_value
      - .actual_access:  read_only
        .address_space:  global
        .offset:         24
        .size:           8
        .value_kind:     global_buffer
      - .offset:         32
        .size:           8
        .value_kind:     by_value
      - .offset:         40
        .size:           8
        .value_kind:     by_value
      - .offset:         48
        .size:           4
        .value_kind:     by_value
    .group_segment_fixed_size: 0
    .kernarg_segment_align: 8
    .kernarg_segment_size: 52
    .language:       OpenCL C
    .language_version:
      - 2
      - 0
    .max_flat_workgroup_size: 256
    .name:           _ZL22rocblas_sscal_2_kernelILi256EDF16_DF16_PKDF16_PKPDF16_EviT2_lT3_lli
    .private_segment_fixed_size: 0
    .sgpr_count:     16
    .sgpr_spill_count: 0
    .symbol:         _ZL22rocblas_sscal_2_kernelILi256EDF16_DF16_PKDF16_PKPDF16_EviT2_lT3_lli.kd
    .uniform_work_group_size: 1
    .uses_dynamic_stack: false
    .vgpr_count:     5
    .vgpr_spill_count: 0
    .wavefront_size: 64
  - .args:
      - .offset:         0
        .size:           4
        .value_kind:     by_value
      - .offset:         4
        .size:           2
        .value_kind:     by_value
      - .offset:         8
        .size:           8
        .value_kind:     by_value
      - .actual_access:  read_only
        .address_space:  global
        .offset:         16
        .size:           8
        .value_kind:     global_buffer
      - .offset:         24
        .size:           8
        .value_kind:     by_value
      - .offset:         32
        .size:           8
        .value_kind:     by_value
      - .offset:         40
        .size:           4
        .value_kind:     by_value
    .group_segment_fixed_size: 0
    .kernarg_segment_align: 8
    .kernarg_segment_size: 44
    .language:       OpenCL C
    .language_version:
      - 2
      - 0
    .max_flat_workgroup_size: 256
    .name:           _ZL22rocblas_sscal_2_kernelILi256EDF16_DF16_DF16_PKPDF16_EviT2_lT3_lli
    .private_segment_fixed_size: 0
    .sgpr_count:     16
    .sgpr_spill_count: 0
    .symbol:         _ZL22rocblas_sscal_2_kernelILi256EDF16_DF16_DF16_PKPDF16_EviT2_lT3_lli.kd
    .uniform_work_group_size: 1
    .uses_dynamic_stack: false
    .vgpr_count:     4
    .vgpr_spill_count: 0
    .wavefront_size: 64
  - .args:
      - .offset:         0
        .size:           4
        .value_kind:     by_value
      - .offset:         4
        .size:           4
        .value_kind:     by_value
      - .offset:         8
        .size:           4
        .value_kind:     by_value
      - .address_space:  global
        .offset:         16
        .size:           8
        .value_kind:     global_buffer
      - .offset:         24
        .size:           8
        .value_kind:     by_value
      - .actual_access:  read_only
        .address_space:  global
        .offset:         32
        .size:           8
        .value_kind:     global_buffer
      - .offset:         40
        .size:           8
        .value_kind:     by_value
      - .offset:         48
        .size:           8
        .value_kind:     by_value
      - .offset:         56
        .size:           4
        .value_kind:     by_value
    .group_segment_fixed_size: 0
    .kernarg_segment_align: 8
    .kernarg_segment_size: 60
    .language:       OpenCL C
    .language_version:
      - 2
      - 0
    .max_flat_workgroup_size: 256
    .name:           _ZL26rocblas_hscal_mlt_4_kernelILi256EPKDF16_PKPDF16_EviiiT0_lT1_lli
    .private_segment_fixed_size: 0
    .sgpr_count:     20
    .sgpr_spill_count: 0
    .symbol:         _ZL26rocblas_hscal_mlt_4_kernelILi256EPKDF16_PKPDF16_EviiiT0_lT1_lli.kd
    .uniform_work_group_size: 1
    .uses_dynamic_stack: false
    .vgpr_count:     7
    .vgpr_spill_count: 0
    .wavefront_size: 64
  - .args:
      - .offset:         0
        .size:           4
        .value_kind:     by_value
      - .offset:         4
        .size:           4
        .value_kind:     by_value
      - .offset:         8
        .size:           4
        .value_kind:     by_value
      - .offset:         12
        .size:           2
        .value_kind:     by_value
      - .offset:         16
        .size:           8
        .value_kind:     by_value
      - .actual_access:  read_only
        .address_space:  global
        .offset:         24
        .size:           8
        .value_kind:     global_buffer
      - .offset:         32
        .size:           8
        .value_kind:     by_value
      - .offset:         40
        .size:           8
        .value_kind:     by_value
      - .offset:         48
        .size:           4
        .value_kind:     by_value
    .group_segment_fixed_size: 0
    .kernarg_segment_align: 8
    .kernarg_segment_size: 52
    .language:       OpenCL C
    .language_version:
      - 2
      - 0
    .max_flat_workgroup_size: 256
    .name:           _ZL26rocblas_hscal_mlt_4_kernelILi256EDF16_PKPDF16_EviiiT0_lT1_lli
    .private_segment_fixed_size: 0
    .sgpr_count:     20
    .sgpr_spill_count: 0
    .symbol:         _ZL26rocblas_hscal_mlt_4_kernelILi256EDF16_PKPDF16_EviiiT0_lT1_lli.kd
    .uniform_work_group_size: 1
    .uses_dynamic_stack: false
    .vgpr_count:     5
    .vgpr_spill_count: 0
    .wavefront_size: 64
  - .args:
      - .offset:         0
        .size:           4
        .value_kind:     by_value
      - .address_space:  global
        .offset:         8
        .size:           8
        .value_kind:     global_buffer
      - .offset:         16
        .size:           8
        .value_kind:     by_value
      - .address_space:  global
        .offset:         24
        .size:           8
        .value_kind:     global_buffer
      - .offset:         32
        .size:           8
        .value_kind:     by_value
      - .offset:         40
        .size:           4
        .value_kind:     by_value
      - .offset:         48
        .size:           8
        .value_kind:     by_value
      - .offset:         56
        .size:           4
        .value_kind:     by_value
    .group_segment_fixed_size: 0
    .kernarg_segment_align: 8
    .kernarg_segment_size: 60
    .language:       OpenCL C
    .language_version:
      - 2
      - 0
    .max_flat_workgroup_size: 256
    .name:           _ZL19rocblas_scal_kernelIiLi256EDF16_DF16_PKDF16_PKPDF16_EviT3_lT4_lT_li
    .private_segment_fixed_size: 0
    .sgpr_count:     20
    .sgpr_spill_count: 0
    .symbol:         _ZL19rocblas_scal_kernelIiLi256EDF16_DF16_PKDF16_PKPDF16_EviT3_lT4_lT_li.kd
    .uniform_work_group_size: 1
    .uses_dynamic_stack: false
    .vgpr_count:     5
    .vgpr_spill_count: 0
    .wavefront_size: 64
  - .args:
      - .offset:         0
        .size:           4
        .value_kind:     by_value
      - .offset:         4
        .size:           2
        .value_kind:     by_value
      - .offset:         8
        .size:           8
        .value_kind:     by_value
      - .address_space:  global
        .offset:         16
        .size:           8
        .value_kind:     global_buffer
      - .offset:         24
        .size:           8
        .value_kind:     by_value
      - .offset:         32
        .size:           4
        .value_kind:     by_value
      - .offset:         40
        .size:           8
        .value_kind:     by_value
      - .offset:         48
        .size:           4
        .value_kind:     by_value
    .group_segment_fixed_size: 0
    .kernarg_segment_align: 8
    .kernarg_segment_size: 52
    .language:       OpenCL C
    .language_version:
      - 2
      - 0
    .max_flat_workgroup_size: 256
    .name:           _ZL19rocblas_scal_kernelIiLi256EDF16_DF16_DF16_PKPDF16_EviT3_lT4_lT_li
    .private_segment_fixed_size: 0
    .sgpr_count:     16
    .sgpr_spill_count: 0
    .symbol:         _ZL19rocblas_scal_kernelIiLi256EDF16_DF16_DF16_PKPDF16_EviT3_lT4_lT_li.kd
    .uniform_work_group_size: 1
    .uses_dynamic_stack: false
    .vgpr_count:     4
    .vgpr_spill_count: 0
    .wavefront_size: 64
  - .args:
      - .offset:         0
        .size:           4
        .value_kind:     by_value
      - .address_space:  global
        .offset:         8
        .size:           8
        .value_kind:     global_buffer
      - .offset:         16
        .size:           8
        .value_kind:     by_value
      - .address_space:  global
        .offset:         24
        .size:           8
        .value_kind:     global_buffer
      - .offset:         32
        .size:           8
        .value_kind:     by_value
      - .offset:         40
        .size:           8
        .value_kind:     by_value
      - .offset:         48
        .size:           8
        .value_kind:     by_value
      - .offset:         56
        .size:           4
        .value_kind:     by_value
    .group_segment_fixed_size: 0
    .kernarg_segment_align: 8
    .kernarg_segment_size: 60
    .language:       OpenCL C
    .language_version:
      - 2
      - 0
    .max_flat_workgroup_size: 256
    .name:           _ZL19rocblas_scal_kernelIlLi256EDF16_DF16_PKDF16_PKPDF16_EviT3_lT4_lT_li
    .private_segment_fixed_size: 0
    .sgpr_count:     20
    .sgpr_spill_count: 0
    .symbol:         _ZL19rocblas_scal_kernelIlLi256EDF16_DF16_PKDF16_PKPDF16_EviT3_lT4_lT_li.kd
    .uniform_work_group_size: 1
    .uses_dynamic_stack: false
    .vgpr_count:     5
    .vgpr_spill_count: 0
    .wavefront_size: 64
  - .args:
      - .offset:         0
        .size:           4
        .value_kind:     by_value
      - .offset:         4
        .size:           2
        .value_kind:     by_value
      - .offset:         8
        .size:           8
        .value_kind:     by_value
      - .address_space:  global
        .offset:         16
        .size:           8
        .value_kind:     global_buffer
      - .offset:         24
        .size:           8
        .value_kind:     by_value
      - .offset:         32
        .size:           8
        .value_kind:     by_value
      - .offset:         40
        .size:           8
        .value_kind:     by_value
      - .offset:         48
        .size:           4
        .value_kind:     by_value
    .group_segment_fixed_size: 0
    .kernarg_segment_align: 8
    .kernarg_segment_size: 52
    .language:       OpenCL C
    .language_version:
      - 2
      - 0
    .max_flat_workgroup_size: 256
    .name:           _ZL19rocblas_scal_kernelIlLi256EDF16_DF16_DF16_PKPDF16_EviT3_lT4_lT_li
    .private_segment_fixed_size: 0
    .sgpr_count:     16
    .sgpr_spill_count: 0
    .symbol:         _ZL19rocblas_scal_kernelIlLi256EDF16_DF16_DF16_PKPDF16_EviT3_lT4_lT_li.kd
    .uniform_work_group_size: 1
    .uses_dynamic_stack: false
    .vgpr_count:     4
    .vgpr_spill_count: 0
    .wavefront_size: 64
  - .args:
      - .offset:         0
        .size:           4
        .value_kind:     by_value
      - .address_space:  global
        .offset:         8
        .size:           8
        .value_kind:     global_buffer
      - .offset:         16
        .size:           8
        .value_kind:     by_value
      - .actual_access:  read_only
        .address_space:  global
        .offset:         24
        .size:           8
        .value_kind:     global_buffer
      - .offset:         32
        .size:           8
        .value_kind:     by_value
      - .offset:         40
        .size:           8
        .value_kind:     by_value
      - .offset:         48
        .size:           4
        .value_kind:     by_value
    .group_segment_fixed_size: 0
    .kernarg_segment_align: 8
    .kernarg_segment_size: 52
    .language:       OpenCL C
    .language_version:
      - 2
      - 0
    .max_flat_workgroup_size: 256
    .name:           _ZL22rocblas_sscal_2_kernelILi256EDF16_DF16_PKfPKPDF16_EviT2_lT3_lli
    .private_segment_fixed_size: 0
    .sgpr_count:     16
    .sgpr_spill_count: 0
    .symbol:         _ZL22rocblas_sscal_2_kernelILi256EDF16_DF16_PKfPKPDF16_EviT2_lT3_lli.kd
    .uniform_work_group_size: 1
    .uses_dynamic_stack: false
    .vgpr_count:     5
    .vgpr_spill_count: 0
    .wavefront_size: 64
  - .args:
      - .offset:         0
        .size:           4
        .value_kind:     by_value
      - .offset:         4
        .size:           4
        .value_kind:     by_value
      - .offset:         8
        .size:           8
        .value_kind:     by_value
      - .actual_access:  read_only
        .address_space:  global
        .offset:         16
        .size:           8
        .value_kind:     global_buffer
      - .offset:         24
        .size:           8
        .value_kind:     by_value
      - .offset:         32
        .size:           8
        .value_kind:     by_value
      - .offset:         40
        .size:           4
        .value_kind:     by_value
    .group_segment_fixed_size: 0
    .kernarg_segment_align: 8
    .kernarg_segment_size: 44
    .language:       OpenCL C
    .language_version:
      - 2
      - 0
    .max_flat_workgroup_size: 256
    .name:           _ZL22rocblas_sscal_2_kernelILi256EDF16_DF16_fPKPDF16_EviT2_lT3_lli
    .private_segment_fixed_size: 0
    .sgpr_count:     16
    .sgpr_spill_count: 0
    .symbol:         _ZL22rocblas_sscal_2_kernelILi256EDF16_DF16_fPKPDF16_EviT2_lT3_lli.kd
    .uniform_work_group_size: 1
    .uses_dynamic_stack: false
    .vgpr_count:     5
    .vgpr_spill_count: 0
    .wavefront_size: 64
  - .args:
      - .offset:         0
        .size:           4
        .value_kind:     by_value
      - .address_space:  global
        .offset:         8
        .size:           8
        .value_kind:     global_buffer
      - .offset:         16
        .size:           8
        .value_kind:     by_value
      - .address_space:  global
        .offset:         24
        .size:           8
        .value_kind:     global_buffer
      - .offset:         32
        .size:           8
        .value_kind:     by_value
      - .offset:         40
        .size:           4
        .value_kind:     by_value
      - .offset:         48
        .size:           8
        .value_kind:     by_value
      - .offset:         56
        .size:           4
        .value_kind:     by_value
    .group_segment_fixed_size: 0
    .kernarg_segment_align: 8
    .kernarg_segment_size: 60
    .language:       OpenCL C
    .language_version:
      - 2
      - 0
    .max_flat_workgroup_size: 256
    .name:           _ZL19rocblas_scal_kernelIiLi256EDF16_DF16_PKfPKPDF16_EviT3_lT4_lT_li
    .private_segment_fixed_size: 0
    .sgpr_count:     20
    .sgpr_spill_count: 0
    .symbol:         _ZL19rocblas_scal_kernelIiLi256EDF16_DF16_PKfPKPDF16_EviT3_lT4_lT_li.kd
    .uniform_work_group_size: 1
    .uses_dynamic_stack: false
    .vgpr_count:     4
    .vgpr_spill_count: 0
    .wavefront_size: 64
  - .args:
      - .offset:         0
        .size:           4
        .value_kind:     by_value
      - .offset:         4
        .size:           4
        .value_kind:     by_value
      - .offset:         8
        .size:           8
        .value_kind:     by_value
      - .address_space:  global
        .offset:         16
        .size:           8
        .value_kind:     global_buffer
      - .offset:         24
        .size:           8
        .value_kind:     by_value
      - .offset:         32
        .size:           4
        .value_kind:     by_value
      - .offset:         40
        .size:           8
        .value_kind:     by_value
      - .offset:         48
        .size:           4
        .value_kind:     by_value
    .group_segment_fixed_size: 0
    .kernarg_segment_align: 8
    .kernarg_segment_size: 52
    .language:       OpenCL C
    .language_version:
      - 2
      - 0
    .max_flat_workgroup_size: 256
    .name:           _ZL19rocblas_scal_kernelIiLi256EDF16_DF16_fPKPDF16_EviT3_lT4_lT_li
    .private_segment_fixed_size: 0
    .sgpr_count:     16
    .sgpr_spill_count: 0
    .symbol:         _ZL19rocblas_scal_kernelIiLi256EDF16_DF16_fPKPDF16_EviT3_lT4_lT_li.kd
    .uniform_work_group_size: 1
    .uses_dynamic_stack: false
    .vgpr_count:     4
    .vgpr_spill_count: 0
    .wavefront_size: 64
  - .args:
      - .offset:         0
        .size:           4
        .value_kind:     by_value
      - .address_space:  global
        .offset:         8
        .size:           8
        .value_kind:     global_buffer
      - .offset:         16
        .size:           8
        .value_kind:     by_value
      - .address_space:  global
        .offset:         24
        .size:           8
        .value_kind:     global_buffer
      - .offset:         32
        .size:           8
        .value_kind:     by_value
      - .offset:         40
        .size:           8
        .value_kind:     by_value
      - .offset:         48
        .size:           8
        .value_kind:     by_value
      - .offset:         56
        .size:           4
        .value_kind:     by_value
    .group_segment_fixed_size: 0
    .kernarg_segment_align: 8
    .kernarg_segment_size: 60
    .language:       OpenCL C
    .language_version:
      - 2
      - 0
    .max_flat_workgroup_size: 256
    .name:           _ZL19rocblas_scal_kernelIlLi256EDF16_DF16_PKfPKPDF16_EviT3_lT4_lT_li
    .private_segment_fixed_size: 0
    .sgpr_count:     20
    .sgpr_spill_count: 0
    .symbol:         _ZL19rocblas_scal_kernelIlLi256EDF16_DF16_PKfPKPDF16_EviT3_lT4_lT_li.kd
    .uniform_work_group_size: 1
    .uses_dynamic_stack: false
    .vgpr_count:     4
    .vgpr_spill_count: 0
    .wavefront_size: 64
  - .args:
      - .offset:         0
        .size:           4
        .value_kind:     by_value
      - .offset:         4
        .size:           4
        .value_kind:     by_value
      - .offset:         8
        .size:           8
        .value_kind:     by_value
      - .address_space:  global
        .offset:         16
        .size:           8
        .value_kind:     global_buffer
      - .offset:         24
        .size:           8
        .value_kind:     by_value
      - .offset:         32
        .size:           8
        .value_kind:     by_value
      - .offset:         40
        .size:           8
        .value_kind:     by_value
      - .offset:         48
        .size:           4
        .value_kind:     by_value
    .group_segment_fixed_size: 0
    .kernarg_segment_align: 8
    .kernarg_segment_size: 52
    .language:       OpenCL C
    .language_version:
      - 2
      - 0
    .max_flat_workgroup_size: 256
    .name:           _ZL19rocblas_scal_kernelIlLi256EDF16_DF16_fPKPDF16_EviT3_lT4_lT_li
    .private_segment_fixed_size: 0
    .sgpr_count:     16
    .sgpr_spill_count: 0
    .symbol:         _ZL19rocblas_scal_kernelIlLi256EDF16_DF16_fPKPDF16_EviT3_lT4_lT_li.kd
    .uniform_work_group_size: 1
    .uses_dynamic_stack: false
    .vgpr_count:     4
    .vgpr_spill_count: 0
    .wavefront_size: 64
  - .args:
      - .offset:         0
        .size:           4
        .value_kind:     by_value
      - .address_space:  global
        .offset:         8
        .size:           8
        .value_kind:     global_buffer
      - .offset:         16
        .size:           8
        .value_kind:     by_value
      - .actual_access:  read_only
        .address_space:  global
        .offset:         24
        .size:           8
        .value_kind:     global_buffer
      - .offset:         32
        .size:           8
        .value_kind:     by_value
      - .offset:         40
        .size:           8
        .value_kind:     by_value
      - .offset:         48
        .size:           4
        .value_kind:     by_value
    .group_segment_fixed_size: 0
    .kernarg_segment_align: 8
    .kernarg_segment_size: 52
    .language:       OpenCL C
    .language_version:
      - 2
      - 0
    .max_flat_workgroup_size: 256
    .name:           _ZL22rocblas_sscal_2_kernelILi256EffPKfPKPfEviT2_lT3_lli
    .private_segment_fixed_size: 0
    .sgpr_count:     16
    .sgpr_spill_count: 0
    .symbol:         _ZL22rocblas_sscal_2_kernelILi256EffPKfPKPfEviT2_lT3_lli.kd
    .uniform_work_group_size: 1
    .uses_dynamic_stack: false
    .vgpr_count:     5
    .vgpr_spill_count: 0
    .wavefront_size: 64
  - .args:
      - .offset:         0
        .size:           4
        .value_kind:     by_value
      - .offset:         4
        .size:           4
        .value_kind:     by_value
      - .offset:         8
        .size:           8
        .value_kind:     by_value
      - .actual_access:  read_only
        .address_space:  global
        .offset:         16
        .size:           8
        .value_kind:     global_buffer
      - .offset:         24
        .size:           8
        .value_kind:     by_value
      - .offset:         32
        .size:           8
        .value_kind:     by_value
      - .offset:         40
        .size:           4
        .value_kind:     by_value
    .group_segment_fixed_size: 0
    .kernarg_segment_align: 8
    .kernarg_segment_size: 44
    .language:       OpenCL C
    .language_version:
      - 2
      - 0
    .max_flat_workgroup_size: 256
    .name:           _ZL22rocblas_sscal_2_kernelILi256EfffPKPfEviT2_lT3_lli
    .private_segment_fixed_size: 0
    .sgpr_count:     16
    .sgpr_spill_count: 0
    .symbol:         _ZL22rocblas_sscal_2_kernelILi256EfffPKPfEviT2_lT3_lli.kd
    .uniform_work_group_size: 1
    .uses_dynamic_stack: false
    .vgpr_count:     5
    .vgpr_spill_count: 0
    .wavefront_size: 64
  - .args:
      - .offset:         0
        .size:           4
        .value_kind:     by_value
      - .address_space:  global
        .offset:         8
        .size:           8
        .value_kind:     global_buffer
      - .offset:         16
        .size:           8
        .value_kind:     by_value
      - .address_space:  global
        .offset:         24
        .size:           8
        .value_kind:     global_buffer
      - .offset:         32
        .size:           8
        .value_kind:     by_value
      - .offset:         40
        .size:           4
        .value_kind:     by_value
      - .offset:         48
        .size:           8
        .value_kind:     by_value
      - .offset:         56
        .size:           4
        .value_kind:     by_value
    .group_segment_fixed_size: 0
    .kernarg_segment_align: 8
    .kernarg_segment_size: 60
    .language:       OpenCL C
    .language_version:
      - 2
      - 0
    .max_flat_workgroup_size: 256
    .name:           _ZL19rocblas_scal_kernelIiLi256EffPKfPKPfEviT3_lT4_lT_li
    .private_segment_fixed_size: 0
    .sgpr_count:     20
    .sgpr_spill_count: 0
    .symbol:         _ZL19rocblas_scal_kernelIiLi256EffPKfPKPfEviT3_lT4_lT_li.kd
    .uniform_work_group_size: 1
    .uses_dynamic_stack: false
    .vgpr_count:     4
    .vgpr_spill_count: 0
    .wavefront_size: 64
  - .args:
      - .offset:         0
        .size:           4
        .value_kind:     by_value
      - .offset:         4
        .size:           4
        .value_kind:     by_value
      - .offset:         8
        .size:           8
        .value_kind:     by_value
      - .address_space:  global
        .offset:         16
        .size:           8
        .value_kind:     global_buffer
      - .offset:         24
        .size:           8
        .value_kind:     by_value
      - .offset:         32
        .size:           4
        .value_kind:     by_value
      - .offset:         40
        .size:           8
        .value_kind:     by_value
      - .offset:         48
        .size:           4
        .value_kind:     by_value
    .group_segment_fixed_size: 0
    .kernarg_segment_align: 8
    .kernarg_segment_size: 52
    .language:       OpenCL C
    .language_version:
      - 2
      - 0
    .max_flat_workgroup_size: 256
    .name:           _ZL19rocblas_scal_kernelIiLi256EfffPKPfEviT3_lT4_lT_li
    .private_segment_fixed_size: 0
    .sgpr_count:     16
    .sgpr_spill_count: 0
    .symbol:         _ZL19rocblas_scal_kernelIiLi256EfffPKPfEviT3_lT4_lT_li.kd
    .uniform_work_group_size: 1
    .uses_dynamic_stack: false
    .vgpr_count:     4
    .vgpr_spill_count: 0
    .wavefront_size: 64
  - .args:
      - .offset:         0
        .size:           4
        .value_kind:     by_value
      - .address_space:  global
        .offset:         8
        .size:           8
        .value_kind:     global_buffer
      - .offset:         16
        .size:           8
        .value_kind:     by_value
      - .address_space:  global
        .offset:         24
        .size:           8
        .value_kind:     global_buffer
      - .offset:         32
        .size:           8
        .value_kind:     by_value
      - .offset:         40
        .size:           8
        .value_kind:     by_value
      - .offset:         48
        .size:           8
        .value_kind:     by_value
      - .offset:         56
        .size:           4
        .value_kind:     by_value
    .group_segment_fixed_size: 0
    .kernarg_segment_align: 8
    .kernarg_segment_size: 60
    .language:       OpenCL C
    .language_version:
      - 2
      - 0
    .max_flat_workgroup_size: 256
    .name:           _ZL19rocblas_scal_kernelIlLi256EffPKfPKPfEviT3_lT4_lT_li
    .private_segment_fixed_size: 0
    .sgpr_count:     20
    .sgpr_spill_count: 0
    .symbol:         _ZL19rocblas_scal_kernelIlLi256EffPKfPKPfEviT3_lT4_lT_li.kd
    .uniform_work_group_size: 1
    .uses_dynamic_stack: false
    .vgpr_count:     4
    .vgpr_spill_count: 0
    .wavefront_size: 64
  - .args:
      - .offset:         0
        .size:           4
        .value_kind:     by_value
      - .offset:         4
        .size:           4
        .value_kind:     by_value
      - .offset:         8
        .size:           8
        .value_kind:     by_value
      - .address_space:  global
        .offset:         16
        .size:           8
        .value_kind:     global_buffer
      - .offset:         24
        .size:           8
        .value_kind:     by_value
      - .offset:         32
        .size:           8
        .value_kind:     by_value
      - .offset:         40
        .size:           8
        .value_kind:     by_value
      - .offset:         48
        .size:           4
        .value_kind:     by_value
    .group_segment_fixed_size: 0
    .kernarg_segment_align: 8
    .kernarg_segment_size: 52
    .language:       OpenCL C
    .language_version:
      - 2
      - 0
    .max_flat_workgroup_size: 256
    .name:           _ZL19rocblas_scal_kernelIlLi256EfffPKPfEviT3_lT4_lT_li
    .private_segment_fixed_size: 0
    .sgpr_count:     16
    .sgpr_spill_count: 0
    .symbol:         _ZL19rocblas_scal_kernelIlLi256EfffPKPfEviT3_lT4_lT_li.kd
    .uniform_work_group_size: 1
    .uses_dynamic_stack: false
    .vgpr_count:     4
    .vgpr_spill_count: 0
    .wavefront_size: 64
  - .args:
      - .offset:         0
        .size:           4
        .value_kind:     by_value
      - .address_space:  global
        .offset:         8
        .size:           8
        .value_kind:     global_buffer
      - .offset:         16
        .size:           8
        .value_kind:     by_value
      - .actual_access:  read_only
        .address_space:  global
        .offset:         24
        .size:           8
        .value_kind:     global_buffer
      - .offset:         32
        .size:           8
        .value_kind:     by_value
      - .offset:         40
        .size:           8
        .value_kind:     by_value
      - .offset:         48
        .size:           4
        .value_kind:     by_value
    .group_segment_fixed_size: 0
    .kernarg_segment_align: 8
    .kernarg_segment_size: 52
    .language:       OpenCL C
    .language_version:
      - 2
      - 0
    .max_flat_workgroup_size: 256
    .name:           _ZL22rocblas_sscal_2_kernelILi256E19rocblas_complex_numIdES1_PKS1_PKPS1_EviT2_lT3_lli
    .private_segment_fixed_size: 0
    .sgpr_count:     20
    .sgpr_spill_count: 0
    .symbol:         _ZL22rocblas_sscal_2_kernelILi256E19rocblas_complex_numIdES1_PKS1_PKPS1_EviT2_lT3_lli.kd
    .uniform_work_group_size: 1
    .uses_dynamic_stack: false
    .vgpr_count:     17
    .vgpr_spill_count: 0
    .wavefront_size: 64
  - .args:
      - .offset:         0
        .size:           4
        .value_kind:     by_value
      - .offset:         8
        .size:           16
        .value_kind:     by_value
      - .offset:         24
        .size:           8
        .value_kind:     by_value
      - .actual_access:  read_only
        .address_space:  global
        .offset:         32
        .size:           8
        .value_kind:     global_buffer
      - .offset:         40
        .size:           8
        .value_kind:     by_value
      - .offset:         48
        .size:           8
        .value_kind:     by_value
      - .offset:         56
        .size:           4
        .value_kind:     by_value
    .group_segment_fixed_size: 0
    .kernarg_segment_align: 8
    .kernarg_segment_size: 60
    .language:       OpenCL C
    .language_version:
      - 2
      - 0
    .max_flat_workgroup_size: 256
    .name:           _ZL22rocblas_sscal_2_kernelILi256E19rocblas_complex_numIdES1_S1_PKPS1_EviT2_lT3_lli
    .private_segment_fixed_size: 0
    .sgpr_count:     20
    .sgpr_spill_count: 0
    .symbol:         _ZL22rocblas_sscal_2_kernelILi256E19rocblas_complex_numIdES1_S1_PKPS1_EviT2_lT3_lli.kd
    .uniform_work_group_size: 1
    .uses_dynamic_stack: false
    .vgpr_count:     17
    .vgpr_spill_count: 0
    .wavefront_size: 64
  - .args:
      - .offset:         0
        .size:           4
        .value_kind:     by_value
      - .address_space:  global
        .offset:         8
        .size:           8
        .value_kind:     global_buffer
      - .offset:         16
        .size:           8
        .value_kind:     by_value
      - .address_space:  global
        .offset:         24
        .size:           8
        .value_kind:     global_buffer
      - .offset:         32
        .size:           8
        .value_kind:     by_value
      - .offset:         40
        .size:           4
        .value_kind:     by_value
      - .offset:         48
        .size:           8
        .value_kind:     by_value
      - .offset:         56
        .size:           4
        .value_kind:     by_value
    .group_segment_fixed_size: 0
    .kernarg_segment_align: 8
    .kernarg_segment_size: 60
    .language:       OpenCL C
    .language_version:
      - 2
      - 0
    .max_flat_workgroup_size: 256
    .name:           _ZL19rocblas_scal_kernelIiLi256E19rocblas_complex_numIdES1_PKS1_PKPS1_EviT3_lT4_lT_li
    .private_segment_fixed_size: 0
    .sgpr_count:     22
    .sgpr_spill_count: 0
    .symbol:         _ZL19rocblas_scal_kernelIiLi256E19rocblas_complex_numIdES1_PKS1_PKPS1_EviT3_lT4_lT_li.kd
    .uniform_work_group_size: 1
    .uses_dynamic_stack: false
    .vgpr_count:     10
    .vgpr_spill_count: 0
    .wavefront_size: 64
  - .args:
      - .offset:         0
        .size:           4
        .value_kind:     by_value
      - .offset:         8
        .size:           16
        .value_kind:     by_value
      - .offset:         24
        .size:           8
        .value_kind:     by_value
      - .address_space:  global
        .offset:         32
        .size:           8
        .value_kind:     global_buffer
      - .offset:         40
        .size:           8
        .value_kind:     by_value
      - .offset:         48
        .size:           4
        .value_kind:     by_value
      - .offset:         56
        .size:           8
        .value_kind:     by_value
      - .offset:         64
        .size:           4
        .value_kind:     by_value
    .group_segment_fixed_size: 0
    .kernarg_segment_align: 8
    .kernarg_segment_size: 68
    .language:       OpenCL C
    .language_version:
      - 2
      - 0
    .max_flat_workgroup_size: 256
    .name:           _ZL19rocblas_scal_kernelIiLi256E19rocblas_complex_numIdES1_S1_PKPS1_EviT3_lT4_lT_li
    .private_segment_fixed_size: 0
    .sgpr_count:     20
    .sgpr_spill_count: 0
    .symbol:         _ZL19rocblas_scal_kernelIiLi256E19rocblas_complex_numIdES1_S1_PKPS1_EviT3_lT4_lT_li.kd
    .uniform_work_group_size: 1
    .uses_dynamic_stack: false
    .vgpr_count:     10
    .vgpr_spill_count: 0
    .wavefront_size: 64
  - .args:
      - .offset:         0
        .size:           4
        .value_kind:     by_value
      - .address_space:  global
        .offset:         8
        .size:           8
        .value_kind:     global_buffer
      - .offset:         16
        .size:           8
        .value_kind:     by_value
      - .address_space:  global
        .offset:         24
        .size:           8
        .value_kind:     global_buffer
      - .offset:         32
        .size:           8
        .value_kind:     by_value
      - .offset:         40
        .size:           8
        .value_kind:     by_value
      - .offset:         48
        .size:           8
        .value_kind:     by_value
      - .offset:         56
        .size:           4
        .value_kind:     by_value
    .group_segment_fixed_size: 0
    .kernarg_segment_align: 8
    .kernarg_segment_size: 60
    .language:       OpenCL C
    .language_version:
      - 2
      - 0
    .max_flat_workgroup_size: 256
    .name:           _ZL19rocblas_scal_kernelIlLi256E19rocblas_complex_numIdES1_PKS1_PKPS1_EviT3_lT4_lT_li
    .private_segment_fixed_size: 0
    .sgpr_count:     22
    .sgpr_spill_count: 0
    .symbol:         _ZL19rocblas_scal_kernelIlLi256E19rocblas_complex_numIdES1_PKS1_PKPS1_EviT3_lT4_lT_li.kd
    .uniform_work_group_size: 1
    .uses_dynamic_stack: false
    .vgpr_count:     10
    .vgpr_spill_count: 0
    .wavefront_size: 64
  - .args:
      - .offset:         0
        .size:           4
        .value_kind:     by_value
      - .offset:         8
        .size:           16
        .value_kind:     by_value
      - .offset:         24
        .size:           8
        .value_kind:     by_value
      - .address_space:  global
        .offset:         32
        .size:           8
        .value_kind:     global_buffer
      - .offset:         40
        .size:           8
        .value_kind:     by_value
      - .offset:         48
        .size:           8
        .value_kind:     by_value
      - .offset:         56
        .size:           8
        .value_kind:     by_value
      - .offset:         64
        .size:           4
        .value_kind:     by_value
    .group_segment_fixed_size: 0
    .kernarg_segment_align: 8
    .kernarg_segment_size: 68
    .language:       OpenCL C
    .language_version:
      - 2
      - 0
    .max_flat_workgroup_size: 256
    .name:           _ZL19rocblas_scal_kernelIlLi256E19rocblas_complex_numIdES1_S1_PKPS1_EviT3_lT4_lT_li
    .private_segment_fixed_size: 0
    .sgpr_count:     20
    .sgpr_spill_count: 0
    .symbol:         _ZL19rocblas_scal_kernelIlLi256E19rocblas_complex_numIdES1_S1_PKPS1_EviT3_lT4_lT_li.kd
    .uniform_work_group_size: 1
    .uses_dynamic_stack: false
    .vgpr_count:     10
    .vgpr_spill_count: 0
    .wavefront_size: 64
  - .args:
      - .offset:         0
        .size:           4
        .value_kind:     by_value
      - .address_space:  global
        .offset:         8
        .size:           8
        .value_kind:     global_buffer
      - .offset:         16
        .size:           8
        .value_kind:     by_value
      - .actual_access:  read_only
        .address_space:  global
        .offset:         24
        .size:           8
        .value_kind:     global_buffer
      - .offset:         32
        .size:           8
        .value_kind:     by_value
      - .offset:         40
        .size:           8
        .value_kind:     by_value
      - .offset:         48
        .size:           4
        .value_kind:     by_value
    .group_segment_fixed_size: 0
    .kernarg_segment_align: 8
    .kernarg_segment_size: 52
    .language:       OpenCL C
    .language_version:
      - 2
      - 0
    .max_flat_workgroup_size: 256
    .name:           _ZL22rocblas_sscal_2_kernelILi256E19rocblas_complex_numIfES1_PKfPKPS1_EviT2_lT3_lli
    .private_segment_fixed_size: 0
    .sgpr_count:     16
    .sgpr_spill_count: 0
    .symbol:         _ZL22rocblas_sscal_2_kernelILi256E19rocblas_complex_numIfES1_PKfPKPS1_EviT2_lT3_lli.kd
    .uniform_work_group_size: 1
    .uses_dynamic_stack: false
    .vgpr_count:     10
    .vgpr_spill_count: 0
    .wavefront_size: 64
  - .args:
      - .offset:         0
        .size:           4
        .value_kind:     by_value
      - .offset:         4
        .size:           4
        .value_kind:     by_value
      - .offset:         8
        .size:           8
        .value_kind:     by_value
      - .actual_access:  read_only
        .address_space:  global
        .offset:         16
        .size:           8
        .value_kind:     global_buffer
      - .offset:         24
        .size:           8
        .value_kind:     by_value
      - .offset:         32
        .size:           8
        .value_kind:     by_value
      - .offset:         40
        .size:           4
        .value_kind:     by_value
    .group_segment_fixed_size: 0
    .kernarg_segment_align: 8
    .kernarg_segment_size: 44
    .language:       OpenCL C
    .language_version:
      - 2
      - 0
    .max_flat_workgroup_size: 256
    .name:           _ZL22rocblas_sscal_2_kernelILi256E19rocblas_complex_numIfES1_fPKPS1_EviT2_lT3_lli
    .private_segment_fixed_size: 0
    .sgpr_count:     16
    .sgpr_spill_count: 0
    .symbol:         _ZL22rocblas_sscal_2_kernelILi256E19rocblas_complex_numIfES1_fPKPS1_EviT2_lT3_lli.kd
    .uniform_work_group_size: 1
    .uses_dynamic_stack: false
    .vgpr_count:     10
    .vgpr_spill_count: 0
    .wavefront_size: 64
  - .args:
      - .offset:         0
        .size:           4
        .value_kind:     by_value
      - .address_space:  global
        .offset:         8
        .size:           8
        .value_kind:     global_buffer
      - .offset:         16
        .size:           8
        .value_kind:     by_value
      - .address_space:  global
        .offset:         24
        .size:           8
        .value_kind:     global_buffer
      - .offset:         32
        .size:           8
        .value_kind:     by_value
      - .offset:         40
        .size:           4
        .value_kind:     by_value
      - .offset:         48
        .size:           8
        .value_kind:     by_value
      - .offset:         56
        .size:           4
        .value_kind:     by_value
    .group_segment_fixed_size: 0
    .kernarg_segment_align: 8
    .kernarg_segment_size: 60
    .language:       OpenCL C
    .language_version:
      - 2
      - 0
    .max_flat_workgroup_size: 256
    .name:           _ZL19rocblas_scal_kernelIiLi256E19rocblas_complex_numIfES1_PKfPKPS1_EviT3_lT4_lT_li
    .private_segment_fixed_size: 0
    .sgpr_count:     20
    .sgpr_spill_count: 0
    .symbol:         _ZL19rocblas_scal_kernelIiLi256E19rocblas_complex_numIfES1_PKfPKPS1_EviT3_lT4_lT_li.kd
    .uniform_work_group_size: 1
    .uses_dynamic_stack: false
    .vgpr_count:     6
    .vgpr_spill_count: 0
    .wavefront_size: 64
  - .args:
      - .offset:         0
        .size:           4
        .value_kind:     by_value
      - .offset:         4
        .size:           4
        .value_kind:     by_value
      - .offset:         8
        .size:           8
        .value_kind:     by_value
      - .address_space:  global
        .offset:         16
        .size:           8
        .value_kind:     global_buffer
      - .offset:         24
        .size:           8
        .value_kind:     by_value
      - .offset:         32
        .size:           4
        .value_kind:     by_value
      - .offset:         40
        .size:           8
        .value_kind:     by_value
      - .offset:         48
        .size:           4
        .value_kind:     by_value
    .group_segment_fixed_size: 0
    .kernarg_segment_align: 8
    .kernarg_segment_size: 52
    .language:       OpenCL C
    .language_version:
      - 2
      - 0
    .max_flat_workgroup_size: 256
    .name:           _ZL19rocblas_scal_kernelIiLi256E19rocblas_complex_numIfES1_fPKPS1_EviT3_lT4_lT_li
    .private_segment_fixed_size: 0
    .sgpr_count:     16
    .sgpr_spill_count: 0
    .symbol:         _ZL19rocblas_scal_kernelIiLi256E19rocblas_complex_numIfES1_fPKPS1_EviT3_lT4_lT_li.kd
    .uniform_work_group_size: 1
    .uses_dynamic_stack: false
    .vgpr_count:     6
    .vgpr_spill_count: 0
    .wavefront_size: 64
  - .args:
      - .offset:         0
        .size:           4
        .value_kind:     by_value
      - .address_space:  global
        .offset:         8
        .size:           8
        .value_kind:     global_buffer
      - .offset:         16
        .size:           8
        .value_kind:     by_value
      - .address_space:  global
        .offset:         24
        .size:           8
        .value_kind:     global_buffer
      - .offset:         32
        .size:           8
        .value_kind:     by_value
      - .offset:         40
        .size:           8
        .value_kind:     by_value
      - .offset:         48
        .size:           8
        .value_kind:     by_value
      - .offset:         56
        .size:           4
        .value_kind:     by_value
    .group_segment_fixed_size: 0
    .kernarg_segment_align: 8
    .kernarg_segment_size: 60
    .language:       OpenCL C
    .language_version:
      - 2
      - 0
    .max_flat_workgroup_size: 256
    .name:           _ZL19rocblas_scal_kernelIlLi256E19rocblas_complex_numIfES1_PKfPKPS1_EviT3_lT4_lT_li
    .private_segment_fixed_size: 0
    .sgpr_count:     20
    .sgpr_spill_count: 0
    .symbol:         _ZL19rocblas_scal_kernelIlLi256E19rocblas_complex_numIfES1_PKfPKPS1_EviT3_lT4_lT_li.kd
    .uniform_work_group_size: 1
    .uses_dynamic_stack: false
    .vgpr_count:     6
    .vgpr_spill_count: 0
    .wavefront_size: 64
  - .args:
      - .offset:         0
        .size:           4
        .value_kind:     by_value
      - .offset:         4
        .size:           4
        .value_kind:     by_value
      - .offset:         8
        .size:           8
        .value_kind:     by_value
      - .address_space:  global
        .offset:         16
        .size:           8
        .value_kind:     global_buffer
      - .offset:         24
        .size:           8
        .value_kind:     by_value
      - .offset:         32
        .size:           8
        .value_kind:     by_value
      - .offset:         40
        .size:           8
        .value_kind:     by_value
      - .offset:         48
        .size:           4
        .value_kind:     by_value
    .group_segment_fixed_size: 0
    .kernarg_segment_align: 8
    .kernarg_segment_size: 52
    .language:       OpenCL C
    .language_version:
      - 2
      - 0
    .max_flat_workgroup_size: 256
    .name:           _ZL19rocblas_scal_kernelIlLi256E19rocblas_complex_numIfES1_fPKPS1_EviT3_lT4_lT_li
    .private_segment_fixed_size: 0
    .sgpr_count:     16
    .sgpr_spill_count: 0
    .symbol:         _ZL19rocblas_scal_kernelIlLi256E19rocblas_complex_numIfES1_fPKPS1_EviT3_lT4_lT_li.kd
    .uniform_work_group_size: 1
    .uses_dynamic_stack: false
    .vgpr_count:     6
    .vgpr_spill_count: 0
    .wavefront_size: 64
  - .args:
      - .offset:         0
        .size:           4
        .value_kind:     by_value
      - .address_space:  global
        .offset:         8
        .size:           8
        .value_kind:     global_buffer
      - .offset:         16
        .size:           8
        .value_kind:     by_value
      - .actual_access:  read_only
        .address_space:  global
        .offset:         24
        .size:           8
        .value_kind:     global_buffer
      - .offset:         32
        .size:           8
        .value_kind:     by_value
      - .offset:         40
        .size:           8
        .value_kind:     by_value
      - .offset:         48
        .size:           4
        .value_kind:     by_value
    .group_segment_fixed_size: 0
    .kernarg_segment_align: 8
    .kernarg_segment_size: 52
    .language:       OpenCL C
    .language_version:
      - 2
      - 0
    .max_flat_workgroup_size: 256
    .name:           _ZL22rocblas_sscal_2_kernelILi256E19rocblas_complex_numIdES1_PKdPKPS1_EviT2_lT3_lli
    .private_segment_fixed_size: 0
    .sgpr_count:     16
    .sgpr_spill_count: 0
    .symbol:         _ZL22rocblas_sscal_2_kernelILi256E19rocblas_complex_numIdES1_PKdPKPS1_EviT2_lT3_lli.kd
    .uniform_work_group_size: 1
    .uses_dynamic_stack: false
    .vgpr_count:     17
    .vgpr_spill_count: 0
    .wavefront_size: 64
  - .args:
      - .offset:         0
        .size:           4
        .value_kind:     by_value
      - .offset:         8
        .size:           8
        .value_kind:     by_value
      - .offset:         16
        .size:           8
        .value_kind:     by_value
      - .actual_access:  read_only
        .address_space:  global
        .offset:         24
        .size:           8
        .value_kind:     global_buffer
      - .offset:         32
        .size:           8
        .value_kind:     by_value
      - .offset:         40
        .size:           8
        .value_kind:     by_value
      - .offset:         48
        .size:           4
        .value_kind:     by_value
    .group_segment_fixed_size: 0
    .kernarg_segment_align: 8
    .kernarg_segment_size: 52
    .language:       OpenCL C
    .language_version:
      - 2
      - 0
    .max_flat_workgroup_size: 256
    .name:           _ZL22rocblas_sscal_2_kernelILi256E19rocblas_complex_numIdES1_dPKPS1_EviT2_lT3_lli
    .private_segment_fixed_size: 0
    .sgpr_count:     16
    .sgpr_spill_count: 0
    .symbol:         _ZL22rocblas_sscal_2_kernelILi256E19rocblas_complex_numIdES1_dPKPS1_EviT2_lT3_lli.kd
    .uniform_work_group_size: 1
    .uses_dynamic_stack: false
    .vgpr_count:     17
    .vgpr_spill_count: 0
    .wavefront_size: 64
  - .args:
      - .offset:         0
        .size:           4
        .value_kind:     by_value
      - .address_space:  global
        .offset:         8
        .size:           8
        .value_kind:     global_buffer
      - .offset:         16
        .size:           8
        .value_kind:     by_value
      - .address_space:  global
        .offset:         24
        .size:           8
        .value_kind:     global_buffer
      - .offset:         32
        .size:           8
        .value_kind:     by_value
      - .offset:         40
        .size:           4
        .value_kind:     by_value
      - .offset:         48
        .size:           8
        .value_kind:     by_value
      - .offset:         56
        .size:           4
        .value_kind:     by_value
    .group_segment_fixed_size: 0
    .kernarg_segment_align: 8
    .kernarg_segment_size: 60
    .language:       OpenCL C
    .language_version:
      - 2
      - 0
    .max_flat_workgroup_size: 256
    .name:           _ZL19rocblas_scal_kernelIiLi256E19rocblas_complex_numIdES1_PKdPKPS1_EviT3_lT4_lT_li
    .private_segment_fixed_size: 0
    .sgpr_count:     20
    .sgpr_spill_count: 0
    .symbol:         _ZL19rocblas_scal_kernelIiLi256E19rocblas_complex_numIdES1_PKdPKPS1_EviT3_lT4_lT_li.kd
    .uniform_work_group_size: 1
    .uses_dynamic_stack: false
    .vgpr_count:     10
    .vgpr_spill_count: 0
    .wavefront_size: 64
  - .args:
      - .offset:         0
        .size:           4
        .value_kind:     by_value
      - .offset:         8
        .size:           8
        .value_kind:     by_value
      - .offset:         16
        .size:           8
        .value_kind:     by_value
      - .address_space:  global
        .offset:         24
        .size:           8
        .value_kind:     global_buffer
      - .offset:         32
        .size:           8
        .value_kind:     by_value
      - .offset:         40
        .size:           4
        .value_kind:     by_value
      - .offset:         48
        .size:           8
        .value_kind:     by_value
      - .offset:         56
        .size:           4
        .value_kind:     by_value
    .group_segment_fixed_size: 0
    .kernarg_segment_align: 8
    .kernarg_segment_size: 60
    .language:       OpenCL C
    .language_version:
      - 2
      - 0
    .max_flat_workgroup_size: 256
    .name:           _ZL19rocblas_scal_kernelIiLi256E19rocblas_complex_numIdES1_dPKPS1_EviT3_lT4_lT_li
    .private_segment_fixed_size: 0
    .sgpr_count:     16
    .sgpr_spill_count: 0
    .symbol:         _ZL19rocblas_scal_kernelIiLi256E19rocblas_complex_numIdES1_dPKPS1_EviT3_lT4_lT_li.kd
    .uniform_work_group_size: 1
    .uses_dynamic_stack: false
    .vgpr_count:     10
    .vgpr_spill_count: 0
    .wavefront_size: 64
  - .args:
      - .offset:         0
        .size:           4
        .value_kind:     by_value
      - .address_space:  global
        .offset:         8
        .size:           8
        .value_kind:     global_buffer
      - .offset:         16
        .size:           8
        .value_kind:     by_value
      - .address_space:  global
        .offset:         24
        .size:           8
        .value_kind:     global_buffer
      - .offset:         32
        .size:           8
        .value_kind:     by_value
      - .offset:         40
        .size:           8
        .value_kind:     by_value
      - .offset:         48
        .size:           8
        .value_kind:     by_value
      - .offset:         56
        .size:           4
        .value_kind:     by_value
    .group_segment_fixed_size: 0
    .kernarg_segment_align: 8
    .kernarg_segment_size: 60
    .language:       OpenCL C
    .language_version:
      - 2
      - 0
    .max_flat_workgroup_size: 256
    .name:           _ZL19rocblas_scal_kernelIlLi256E19rocblas_complex_numIdES1_PKdPKPS1_EviT3_lT4_lT_li
    .private_segment_fixed_size: 0
    .sgpr_count:     20
    .sgpr_spill_count: 0
    .symbol:         _ZL19rocblas_scal_kernelIlLi256E19rocblas_complex_numIdES1_PKdPKPS1_EviT3_lT4_lT_li.kd
    .uniform_work_group_size: 1
    .uses_dynamic_stack: false
    .vgpr_count:     10
    .vgpr_spill_count: 0
    .wavefront_size: 64
  - .args:
      - .offset:         0
        .size:           4
        .value_kind:     by_value
      - .offset:         8
        .size:           8
        .value_kind:     by_value
      - .offset:         16
        .size:           8
        .value_kind:     by_value
      - .address_space:  global
        .offset:         24
        .size:           8
        .value_kind:     global_buffer
      - .offset:         32
        .size:           8
        .value_kind:     by_value
      - .offset:         40
        .size:           8
        .value_kind:     by_value
      - .offset:         48
        .size:           8
        .value_kind:     by_value
      - .offset:         56
        .size:           4
        .value_kind:     by_value
    .group_segment_fixed_size: 0
    .kernarg_segment_align: 8
    .kernarg_segment_size: 60
    .language:       OpenCL C
    .language_version:
      - 2
      - 0
    .max_flat_workgroup_size: 256
    .name:           _ZL19rocblas_scal_kernelIlLi256E19rocblas_complex_numIdES1_dPKPS1_EviT3_lT4_lT_li
    .private_segment_fixed_size: 0
    .sgpr_count:     16
    .sgpr_spill_count: 0
    .symbol:         _ZL19rocblas_scal_kernelIlLi256E19rocblas_complex_numIdES1_dPKPS1_EviT3_lT4_lT_li.kd
    .uniform_work_group_size: 1
    .uses_dynamic_stack: false
    .vgpr_count:     10
    .vgpr_spill_count: 0
    .wavefront_size: 64
  - .args:
      - .offset:         0
        .size:           4
        .value_kind:     by_value
      - .address_space:  global
        .offset:         8
        .size:           8
        .value_kind:     global_buffer
      - .offset:         16
        .size:           8
        .value_kind:     by_value
      - .address_space:  global
        .offset:         24
        .size:           8
        .value_kind:     global_buffer
      - .offset:         32
        .size:           8
        .value_kind:     by_value
      - .offset:         40
        .size:           8
        .value_kind:     by_value
      - .offset:         48
        .size:           4
        .value_kind:     by_value
    .group_segment_fixed_size: 0
    .kernarg_segment_align: 8
    .kernarg_segment_size: 52
    .language:       OpenCL C
    .language_version:
      - 2
      - 0
    .max_flat_workgroup_size: 256
    .name:           _ZL22rocblas_sscal_2_kernelILi256EDF16_fPKDF16_PDF16_EviT2_lT3_lli
    .private_segment_fixed_size: 0
    .sgpr_count:     16
    .sgpr_spill_count: 0
    .symbol:         _ZL22rocblas_sscal_2_kernelILi256EDF16_fPKDF16_PDF16_EviT2_lT3_lli.kd
    .uniform_work_group_size: 1
    .uses_dynamic_stack: false
    .vgpr_count:     5
    .vgpr_spill_count: 0
    .wavefront_size: 64
  - .args:
      - .offset:         0
        .size:           4
        .value_kind:     by_value
      - .offset:         4
        .size:           2
        .value_kind:     by_value
      - .offset:         8
        .size:           8
        .value_kind:     by_value
      - .address_space:  global
        .offset:         16
        .size:           8
        .value_kind:     global_buffer
      - .offset:         24
        .size:           8
        .value_kind:     by_value
      - .offset:         32
        .size:           8
        .value_kind:     by_value
      - .offset:         40
        .size:           4
        .value_kind:     by_value
    .group_segment_fixed_size: 0
    .kernarg_segment_align: 8
    .kernarg_segment_size: 44
    .language:       OpenCL C
    .language_version:
      - 2
      - 0
    .max_flat_workgroup_size: 256
    .name:           _ZL22rocblas_sscal_2_kernelILi256EDF16_fDF16_PDF16_EviT2_lT3_lli
    .private_segment_fixed_size: 0
    .sgpr_count:     16
    .sgpr_spill_count: 0
    .symbol:         _ZL22rocblas_sscal_2_kernelILi256EDF16_fDF16_PDF16_EviT2_lT3_lli.kd
    .uniform_work_group_size: 1
    .uses_dynamic_stack: false
    .vgpr_count:     4
    .vgpr_spill_count: 0
    .wavefront_size: 64
  - .args:
      - .offset:         0
        .size:           4
        .value_kind:     by_value
      - .address_space:  global
        .offset:         8
        .size:           8
        .value_kind:     global_buffer
      - .offset:         16
        .size:           8
        .value_kind:     by_value
      - .address_space:  global
        .offset:         24
        .size:           8
        .value_kind:     global_buffer
      - .offset:         32
        .size:           8
        .value_kind:     by_value
      - .offset:         40
        .size:           4
        .value_kind:     by_value
      - .offset:         48
        .size:           8
        .value_kind:     by_value
      - .offset:         56
        .size:           4
        .value_kind:     by_value
    .group_segment_fixed_size: 0
    .kernarg_segment_align: 8
    .kernarg_segment_size: 60
    .language:       OpenCL C
    .language_version:
      - 2
      - 0
    .max_flat_workgroup_size: 256
    .name:           _ZL19rocblas_scal_kernelIiLi256EDF16_fPKDF16_PDF16_EviT3_lT4_lT_li
    .private_segment_fixed_size: 0
    .sgpr_count:     20
    .sgpr_spill_count: 0
    .symbol:         _ZL19rocblas_scal_kernelIiLi256EDF16_fPKDF16_PDF16_EviT3_lT4_lT_li.kd
    .uniform_work_group_size: 1
    .uses_dynamic_stack: false
    .vgpr_count:     5
    .vgpr_spill_count: 0
    .wavefront_size: 64
  - .args:
      - .offset:         0
        .size:           4
        .value_kind:     by_value
      - .offset:         4
        .size:           2
        .value_kind:     by_value
      - .offset:         8
        .size:           8
        .value_kind:     by_value
      - .address_space:  global
        .offset:         16
        .size:           8
        .value_kind:     global_buffer
      - .offset:         24
        .size:           8
        .value_kind:     by_value
      - .offset:         32
        .size:           4
        .value_kind:     by_value
      - .offset:         40
        .size:           8
        .value_kind:     by_value
      - .offset:         48
        .size:           4
        .value_kind:     by_value
    .group_segment_fixed_size: 0
    .kernarg_segment_align: 8
    .kernarg_segment_size: 52
    .language:       OpenCL C
    .language_version:
      - 2
      - 0
    .max_flat_workgroup_size: 256
    .name:           _ZL19rocblas_scal_kernelIiLi256EDF16_fDF16_PDF16_EviT3_lT4_lT_li
    .private_segment_fixed_size: 0
    .sgpr_count:     16
    .sgpr_spill_count: 0
    .symbol:         _ZL19rocblas_scal_kernelIiLi256EDF16_fDF16_PDF16_EviT3_lT4_lT_li.kd
    .uniform_work_group_size: 1
    .uses_dynamic_stack: false
    .vgpr_count:     4
    .vgpr_spill_count: 0
    .wavefront_size: 64
  - .args:
      - .offset:         0
        .size:           4
        .value_kind:     by_value
      - .address_space:  global
        .offset:         8
        .size:           8
        .value_kind:     global_buffer
      - .offset:         16
        .size:           8
        .value_kind:     by_value
      - .address_space:  global
        .offset:         24
        .size:           8
        .value_kind:     global_buffer
      - .offset:         32
        .size:           8
        .value_kind:     by_value
      - .offset:         40
        .size:           8
        .value_kind:     by_value
      - .offset:         48
        .size:           8
        .value_kind:     by_value
      - .offset:         56
        .size:           4
        .value_kind:     by_value
    .group_segment_fixed_size: 0
    .kernarg_segment_align: 8
    .kernarg_segment_size: 60
    .language:       OpenCL C
    .language_version:
      - 2
      - 0
    .max_flat_workgroup_size: 256
    .name:           _ZL19rocblas_scal_kernelIlLi256EDF16_fPKDF16_PDF16_EviT3_lT4_lT_li
    .private_segment_fixed_size: 0
    .sgpr_count:     20
    .sgpr_spill_count: 0
    .symbol:         _ZL19rocblas_scal_kernelIlLi256EDF16_fPKDF16_PDF16_EviT3_lT4_lT_li.kd
    .uniform_work_group_size: 1
    .uses_dynamic_stack: false
    .vgpr_count:     5
    .vgpr_spill_count: 0
    .wavefront_size: 64
  - .args:
      - .offset:         0
        .size:           4
        .value_kind:     by_value
      - .offset:         4
        .size:           2
        .value_kind:     by_value
      - .offset:         8
        .size:           8
        .value_kind:     by_value
      - .address_space:  global
        .offset:         16
        .size:           8
        .value_kind:     global_buffer
      - .offset:         24
        .size:           8
        .value_kind:     by_value
      - .offset:         32
        .size:           8
        .value_kind:     by_value
      - .offset:         40
        .size:           8
        .value_kind:     by_value
      - .offset:         48
        .size:           4
        .value_kind:     by_value
    .group_segment_fixed_size: 0
    .kernarg_segment_align: 8
    .kernarg_segment_size: 52
    .language:       OpenCL C
    .language_version:
      - 2
      - 0
    .max_flat_workgroup_size: 256
    .name:           _ZL19rocblas_scal_kernelIlLi256EDF16_fDF16_PDF16_EviT3_lT4_lT_li
    .private_segment_fixed_size: 0
    .sgpr_count:     20
    .sgpr_spill_count: 0
    .symbol:         _ZL19rocblas_scal_kernelIlLi256EDF16_fDF16_PDF16_EviT3_lT4_lT_li.kd
    .uniform_work_group_size: 1
    .uses_dynamic_stack: false
    .vgpr_count:     4
    .vgpr_spill_count: 0
    .wavefront_size: 64
  - .args:
      - .offset:         0
        .size:           4
        .value_kind:     by_value
      - .address_space:  global
        .offset:         8
        .size:           8
        .value_kind:     global_buffer
      - .offset:         16
        .size:           8
        .value_kind:     by_value
      - .address_space:  global
        .offset:         24
        .size:           8
        .value_kind:     global_buffer
      - .offset:         32
        .size:           8
        .value_kind:     by_value
      - .offset:         40
        .size:           8
        .value_kind:     by_value
      - .offset:         48
        .size:           4
        .value_kind:     by_value
    .group_segment_fixed_size: 0
    .kernarg_segment_align: 8
    .kernarg_segment_size: 52
    .language:       OpenCL C
    .language_version:
      - 2
      - 0
    .max_flat_workgroup_size: 256
    .name:           _ZL22rocblas_sscal_2_kernelILi256EDF16_fPKfPDF16_EviT2_lT3_lli
    .private_segment_fixed_size: 0
    .sgpr_count:     16
    .sgpr_spill_count: 0
    .symbol:         _ZL22rocblas_sscal_2_kernelILi256EDF16_fPKfPDF16_EviT2_lT3_lli.kd
    .uniform_work_group_size: 1
    .uses_dynamic_stack: false
    .vgpr_count:     5
    .vgpr_spill_count: 0
    .wavefront_size: 64
  - .args:
      - .offset:         0
        .size:           4
        .value_kind:     by_value
      - .offset:         4
        .size:           4
        .value_kind:     by_value
      - .offset:         8
        .size:           8
        .value_kind:     by_value
      - .address_space:  global
        .offset:         16
        .size:           8
        .value_kind:     global_buffer
      - .offset:         24
        .size:           8
        .value_kind:     by_value
      - .offset:         32
        .size:           8
        .value_kind:     by_value
      - .offset:         40
        .size:           4
        .value_kind:     by_value
    .group_segment_fixed_size: 0
    .kernarg_segment_align: 8
    .kernarg_segment_size: 44
    .language:       OpenCL C
    .language_version:
      - 2
      - 0
    .max_flat_workgroup_size: 256
    .name:           _ZL22rocblas_sscal_2_kernelILi256EDF16_ffPDF16_EviT2_lT3_lli
    .private_segment_fixed_size: 0
    .sgpr_count:     16
    .sgpr_spill_count: 0
    .symbol:         _ZL22rocblas_sscal_2_kernelILi256EDF16_ffPDF16_EviT2_lT3_lli.kd
    .uniform_work_group_size: 1
    .uses_dynamic_stack: false
    .vgpr_count:     5
    .vgpr_spill_count: 0
    .wavefront_size: 64
  - .args:
      - .offset:         0
        .size:           4
        .value_kind:     by_value
      - .address_space:  global
        .offset:         8
        .size:           8
        .value_kind:     global_buffer
      - .offset:         16
        .size:           8
        .value_kind:     by_value
      - .address_space:  global
        .offset:         24
        .size:           8
        .value_kind:     global_buffer
      - .offset:         32
        .size:           8
        .value_kind:     by_value
      - .offset:         40
        .size:           4
        .value_kind:     by_value
      - .offset:         48
        .size:           8
        .value_kind:     by_value
      - .offset:         56
        .size:           4
        .value_kind:     by_value
    .group_segment_fixed_size: 0
    .kernarg_segment_align: 8
    .kernarg_segment_size: 60
    .language:       OpenCL C
    .language_version:
      - 2
      - 0
    .max_flat_workgroup_size: 256
    .name:           _ZL19rocblas_scal_kernelIiLi256EDF16_fPKfPDF16_EviT3_lT4_lT_li
    .private_segment_fixed_size: 0
    .sgpr_count:     20
    .sgpr_spill_count: 0
    .symbol:         _ZL19rocblas_scal_kernelIiLi256EDF16_fPKfPDF16_EviT3_lT4_lT_li.kd
    .uniform_work_group_size: 1
    .uses_dynamic_stack: false
    .vgpr_count:     4
    .vgpr_spill_count: 0
    .wavefront_size: 64
  - .args:
      - .offset:         0
        .size:           4
        .value_kind:     by_value
      - .offset:         4
        .size:           4
        .value_kind:     by_value
      - .offset:         8
        .size:           8
        .value_kind:     by_value
      - .address_space:  global
        .offset:         16
        .size:           8
        .value_kind:     global_buffer
      - .offset:         24
        .size:           8
        .value_kind:     by_value
      - .offset:         32
        .size:           4
        .value_kind:     by_value
      - .offset:         40
        .size:           8
        .value_kind:     by_value
      - .offset:         48
        .size:           4
        .value_kind:     by_value
    .group_segment_fixed_size: 0
    .kernarg_segment_align: 8
    .kernarg_segment_size: 52
    .language:       OpenCL C
    .language_version:
      - 2
      - 0
    .max_flat_workgroup_size: 256
    .name:           _ZL19rocblas_scal_kernelIiLi256EDF16_ffPDF16_EviT3_lT4_lT_li
    .private_segment_fixed_size: 0
    .sgpr_count:     16
    .sgpr_spill_count: 0
    .symbol:         _ZL19rocblas_scal_kernelIiLi256EDF16_ffPDF16_EviT3_lT4_lT_li.kd
    .uniform_work_group_size: 1
    .uses_dynamic_stack: false
    .vgpr_count:     4
    .vgpr_spill_count: 0
    .wavefront_size: 64
  - .args:
      - .offset:         0
        .size:           4
        .value_kind:     by_value
      - .address_space:  global
        .offset:         8
        .size:           8
        .value_kind:     global_buffer
      - .offset:         16
        .size:           8
        .value_kind:     by_value
      - .address_space:  global
        .offset:         24
        .size:           8
        .value_kind:     global_buffer
      - .offset:         32
        .size:           8
        .value_kind:     by_value
      - .offset:         40
        .size:           8
        .value_kind:     by_value
      - .offset:         48
        .size:           8
        .value_kind:     by_value
      - .offset:         56
        .size:           4
        .value_kind:     by_value
    .group_segment_fixed_size: 0
    .kernarg_segment_align: 8
    .kernarg_segment_size: 60
    .language:       OpenCL C
    .language_version:
      - 2
      - 0
    .max_flat_workgroup_size: 256
    .name:           _ZL19rocblas_scal_kernelIlLi256EDF16_fPKfPDF16_EviT3_lT4_lT_li
    .private_segment_fixed_size: 0
    .sgpr_count:     20
    .sgpr_spill_count: 0
    .symbol:         _ZL19rocblas_scal_kernelIlLi256EDF16_fPKfPDF16_EviT3_lT4_lT_li.kd
    .uniform_work_group_size: 1
    .uses_dynamic_stack: false
    .vgpr_count:     4
    .vgpr_spill_count: 0
    .wavefront_size: 64
  - .args:
      - .offset:         0
        .size:           4
        .value_kind:     by_value
      - .offset:         4
        .size:           4
        .value_kind:     by_value
      - .offset:         8
        .size:           8
        .value_kind:     by_value
      - .address_space:  global
        .offset:         16
        .size:           8
        .value_kind:     global_buffer
      - .offset:         24
        .size:           8
        .value_kind:     by_value
      - .offset:         32
        .size:           8
        .value_kind:     by_value
      - .offset:         40
        .size:           8
        .value_kind:     by_value
      - .offset:         48
        .size:           4
        .value_kind:     by_value
    .group_segment_fixed_size: 0
    .kernarg_segment_align: 8
    .kernarg_segment_size: 52
    .language:       OpenCL C
    .language_version:
      - 2
      - 0
    .max_flat_workgroup_size: 256
    .name:           _ZL19rocblas_scal_kernelIlLi256EDF16_ffPDF16_EviT3_lT4_lT_li
    .private_segment_fixed_size: 0
    .sgpr_count:     20
    .sgpr_spill_count: 0
    .symbol:         _ZL19rocblas_scal_kernelIlLi256EDF16_ffPDF16_EviT3_lT4_lT_li.kd
    .uniform_work_group_size: 1
    .uses_dynamic_stack: false
    .vgpr_count:     4
    .vgpr_spill_count: 0
    .wavefront_size: 64
  - .args:
      - .offset:         0
        .size:           4
        .value_kind:     by_value
      - .address_space:  global
        .offset:         8
        .size:           8
        .value_kind:     global_buffer
      - .offset:         16
        .size:           8
        .value_kind:     by_value
      - .address_space:  global
        .offset:         24
        .size:           8
        .value_kind:     global_buffer
      - .offset:         32
        .size:           8
        .value_kind:     by_value
      - .offset:         40
        .size:           8
        .value_kind:     by_value
      - .offset:         48
        .size:           4
        .value_kind:     by_value
    .group_segment_fixed_size: 0
    .kernarg_segment_align: 8
    .kernarg_segment_size: 52
    .language:       OpenCL C
    .language_version:
      - 2
      - 0
    .max_flat_workgroup_size: 256
    .name:           _ZL22rocblas_sscal_2_kernelILi256E16rocblas_bfloat16fPKS0_PS0_EviT2_lT3_lli
    .private_segment_fixed_size: 0
    .sgpr_count:     16
    .sgpr_spill_count: 0
    .symbol:         _ZL22rocblas_sscal_2_kernelILi256E16rocblas_bfloat16fPKS0_PS0_EviT2_lT3_lli.kd
    .uniform_work_group_size: 1
    .uses_dynamic_stack: false
    .vgpr_count:     7
    .vgpr_spill_count: 0
    .wavefront_size: 64
  - .args:
      - .offset:         0
        .size:           4
        .value_kind:     by_value
      - .offset:         4
        .size:           2
        .value_kind:     by_value
      - .offset:         8
        .size:           8
        .value_kind:     by_value
      - .address_space:  global
        .offset:         16
        .size:           8
        .value_kind:     global_buffer
      - .offset:         24
        .size:           8
        .value_kind:     by_value
      - .offset:         32
        .size:           8
        .value_kind:     by_value
      - .offset:         40
        .size:           4
        .value_kind:     by_value
    .group_segment_fixed_size: 0
    .kernarg_segment_align: 8
    .kernarg_segment_size: 44
    .language:       OpenCL C
    .language_version:
      - 2
      - 0
    .max_flat_workgroup_size: 256
    .name:           _ZL22rocblas_sscal_2_kernelILi256E16rocblas_bfloat16fS0_PS0_EviT2_lT3_lli
    .private_segment_fixed_size: 0
    .sgpr_count:     16
    .sgpr_spill_count: 0
    .symbol:         _ZL22rocblas_sscal_2_kernelILi256E16rocblas_bfloat16fS0_PS0_EviT2_lT3_lli.kd
    .uniform_work_group_size: 1
    .uses_dynamic_stack: false
    .vgpr_count:     6
    .vgpr_spill_count: 0
    .wavefront_size: 64
  - .args:
      - .offset:         0
        .size:           4
        .value_kind:     by_value
      - .address_space:  global
        .offset:         8
        .size:           8
        .value_kind:     global_buffer
      - .offset:         16
        .size:           8
        .value_kind:     by_value
      - .address_space:  global
        .offset:         24
        .size:           8
        .value_kind:     global_buffer
      - .offset:         32
        .size:           8
        .value_kind:     by_value
      - .offset:         40
        .size:           4
        .value_kind:     by_value
      - .offset:         48
        .size:           8
        .value_kind:     by_value
      - .offset:         56
        .size:           4
        .value_kind:     by_value
    .group_segment_fixed_size: 0
    .kernarg_segment_align: 8
    .kernarg_segment_size: 60
    .language:       OpenCL C
    .language_version:
      - 2
      - 0
    .max_flat_workgroup_size: 256
    .name:           _ZL19rocblas_scal_kernelIiLi256E16rocblas_bfloat16fPKS0_PS0_EviT3_lT4_lT_li
    .private_segment_fixed_size: 0
    .sgpr_count:     20
    .sgpr_spill_count: 0
    .symbol:         _ZL19rocblas_scal_kernelIiLi256E16rocblas_bfloat16fPKS0_PS0_EviT3_lT4_lT_li.kd
    .uniform_work_group_size: 1
    .uses_dynamic_stack: false
    .vgpr_count:     5
    .vgpr_spill_count: 0
    .wavefront_size: 64
  - .args:
      - .offset:         0
        .size:           4
        .value_kind:     by_value
      - .offset:         4
        .size:           2
        .value_kind:     by_value
      - .offset:         8
        .size:           8
        .value_kind:     by_value
      - .address_space:  global
        .offset:         16
        .size:           8
        .value_kind:     global_buffer
      - .offset:         24
        .size:           8
        .value_kind:     by_value
      - .offset:         32
        .size:           4
        .value_kind:     by_value
      - .offset:         40
        .size:           8
        .value_kind:     by_value
      - .offset:         48
        .size:           4
        .value_kind:     by_value
    .group_segment_fixed_size: 0
    .kernarg_segment_align: 8
    .kernarg_segment_size: 52
    .language:       OpenCL C
    .language_version:
      - 2
      - 0
    .max_flat_workgroup_size: 256
    .name:           _ZL19rocblas_scal_kernelIiLi256E16rocblas_bfloat16fS0_PS0_EviT3_lT4_lT_li
    .private_segment_fixed_size: 0
    .sgpr_count:     16
    .sgpr_spill_count: 0
    .symbol:         _ZL19rocblas_scal_kernelIiLi256E16rocblas_bfloat16fS0_PS0_EviT3_lT4_lT_li.kd
    .uniform_work_group_size: 1
    .uses_dynamic_stack: false
    .vgpr_count:     5
    .vgpr_spill_count: 0
    .wavefront_size: 64
  - .args:
      - .offset:         0
        .size:           4
        .value_kind:     by_value
      - .address_space:  global
        .offset:         8
        .size:           8
        .value_kind:     global_buffer
      - .offset:         16
        .size:           8
        .value_kind:     by_value
      - .address_space:  global
        .offset:         24
        .size:           8
        .value_kind:     global_buffer
      - .offset:         32
        .size:           8
        .value_kind:     by_value
      - .offset:         40
        .size:           8
        .value_kind:     by_value
      - .offset:         48
        .size:           8
        .value_kind:     by_value
      - .offset:         56
        .size:           4
        .value_kind:     by_value
    .group_segment_fixed_size: 0
    .kernarg_segment_align: 8
    .kernarg_segment_size: 60
    .language:       OpenCL C
    .language_version:
      - 2
      - 0
    .max_flat_workgroup_size: 256
    .name:           _ZL19rocblas_scal_kernelIlLi256E16rocblas_bfloat16fPKS0_PS0_EviT3_lT4_lT_li
    .private_segment_fixed_size: 0
    .sgpr_count:     20
    .sgpr_spill_count: 0
    .symbol:         _ZL19rocblas_scal_kernelIlLi256E16rocblas_bfloat16fPKS0_PS0_EviT3_lT4_lT_li.kd
    .uniform_work_group_size: 1
    .uses_dynamic_stack: false
    .vgpr_count:     5
    .vgpr_spill_count: 0
    .wavefront_size: 64
  - .args:
      - .offset:         0
        .size:           4
        .value_kind:     by_value
      - .offset:         4
        .size:           2
        .value_kind:     by_value
      - .offset:         8
        .size:           8
        .value_kind:     by_value
      - .address_space:  global
        .offset:         16
        .size:           8
        .value_kind:     global_buffer
      - .offset:         24
        .size:           8
        .value_kind:     by_value
      - .offset:         32
        .size:           8
        .value_kind:     by_value
      - .offset:         40
        .size:           8
        .value_kind:     by_value
      - .offset:         48
        .size:           4
        .value_kind:     by_value
    .group_segment_fixed_size: 0
    .kernarg_segment_align: 8
    .kernarg_segment_size: 52
    .language:       OpenCL C
    .language_version:
      - 2
      - 0
    .max_flat_workgroup_size: 256
    .name:           _ZL19rocblas_scal_kernelIlLi256E16rocblas_bfloat16fS0_PS0_EviT3_lT4_lT_li
    .private_segment_fixed_size: 0
    .sgpr_count:     20
    .sgpr_spill_count: 0
    .symbol:         _ZL19rocblas_scal_kernelIlLi256E16rocblas_bfloat16fS0_PS0_EviT3_lT4_lT_li.kd
    .uniform_work_group_size: 1
    .uses_dynamic_stack: false
    .vgpr_count:     5
    .vgpr_spill_count: 0
    .wavefront_size: 64
  - .args:
      - .offset:         0
        .size:           4
        .value_kind:     by_value
      - .address_space:  global
        .offset:         8
        .size:           8
        .value_kind:     global_buffer
      - .offset:         16
        .size:           8
        .value_kind:     by_value
      - .address_space:  global
        .offset:         24
        .size:           8
        .value_kind:     global_buffer
      - .offset:         32
        .size:           8
        .value_kind:     by_value
      - .offset:         40
        .size:           8
        .value_kind:     by_value
      - .offset:         48
        .size:           4
        .value_kind:     by_value
    .group_segment_fixed_size: 0
    .kernarg_segment_align: 8
    .kernarg_segment_size: 52
    .language:       OpenCL C
    .language_version:
      - 2
      - 0
    .max_flat_workgroup_size: 256
    .name:           _ZL22rocblas_sscal_2_kernelILi256E16rocblas_bfloat16fPKfPS0_EviT2_lT3_lli
    .private_segment_fixed_size: 0
    .sgpr_count:     16
    .sgpr_spill_count: 0
    .symbol:         _ZL22rocblas_sscal_2_kernelILi256E16rocblas_bfloat16fPKfPS0_EviT2_lT3_lli.kd
    .uniform_work_group_size: 1
    .uses_dynamic_stack: false
    .vgpr_count:     6
    .vgpr_spill_count: 0
    .wavefront_size: 64
  - .args:
      - .offset:         0
        .size:           4
        .value_kind:     by_value
      - .offset:         4
        .size:           4
        .value_kind:     by_value
      - .offset:         8
        .size:           8
        .value_kind:     by_value
      - .address_space:  global
        .offset:         16
        .size:           8
        .value_kind:     global_buffer
      - .offset:         24
        .size:           8
        .value_kind:     by_value
      - .offset:         32
        .size:           8
        .value_kind:     by_value
      - .offset:         40
        .size:           4
        .value_kind:     by_value
    .group_segment_fixed_size: 0
    .kernarg_segment_align: 8
    .kernarg_segment_size: 44
    .language:       OpenCL C
    .language_version:
      - 2
      - 0
    .max_flat_workgroup_size: 256
    .name:           _ZL22rocblas_sscal_2_kernelILi256E16rocblas_bfloat16ffPS0_EviT2_lT3_lli
    .private_segment_fixed_size: 0
    .sgpr_count:     16
    .sgpr_spill_count: 0
    .symbol:         _ZL22rocblas_sscal_2_kernelILi256E16rocblas_bfloat16ffPS0_EviT2_lT3_lli.kd
    .uniform_work_group_size: 1
    .uses_dynamic_stack: false
    .vgpr_count:     6
    .vgpr_spill_count: 0
    .wavefront_size: 64
  - .args:
      - .offset:         0
        .size:           4
        .value_kind:     by_value
      - .address_space:  global
        .offset:         8
        .size:           8
        .value_kind:     global_buffer
      - .offset:         16
        .size:           8
        .value_kind:     by_value
      - .address_space:  global
        .offset:         24
        .size:           8
        .value_kind:     global_buffer
      - .offset:         32
        .size:           8
        .value_kind:     by_value
      - .offset:         40
        .size:           4
        .value_kind:     by_value
      - .offset:         48
        .size:           8
        .value_kind:     by_value
      - .offset:         56
        .size:           4
        .value_kind:     by_value
    .group_segment_fixed_size: 0
    .kernarg_segment_align: 8
    .kernarg_segment_size: 60
    .language:       OpenCL C
    .language_version:
      - 2
      - 0
    .max_flat_workgroup_size: 256
    .name:           _ZL19rocblas_scal_kernelIiLi256E16rocblas_bfloat16fPKfPS0_EviT3_lT4_lT_li
    .private_segment_fixed_size: 0
    .sgpr_count:     20
    .sgpr_spill_count: 0
    .symbol:         _ZL19rocblas_scal_kernelIiLi256E16rocblas_bfloat16fPKfPS0_EviT3_lT4_lT_li.kd
    .uniform_work_group_size: 1
    .uses_dynamic_stack: false
    .vgpr_count:     5
    .vgpr_spill_count: 0
    .wavefront_size: 64
  - .args:
      - .offset:         0
        .size:           4
        .value_kind:     by_value
      - .offset:         4
        .size:           4
        .value_kind:     by_value
      - .offset:         8
        .size:           8
        .value_kind:     by_value
      - .address_space:  global
        .offset:         16
        .size:           8
        .value_kind:     global_buffer
      - .offset:         24
        .size:           8
        .value_kind:     by_value
      - .offset:         32
        .size:           4
        .value_kind:     by_value
      - .offset:         40
        .size:           8
        .value_kind:     by_value
      - .offset:         48
        .size:           4
        .value_kind:     by_value
    .group_segment_fixed_size: 0
    .kernarg_segment_align: 8
    .kernarg_segment_size: 52
    .language:       OpenCL C
    .language_version:
      - 2
      - 0
    .max_flat_workgroup_size: 256
    .name:           _ZL19rocblas_scal_kernelIiLi256E16rocblas_bfloat16ffPS0_EviT3_lT4_lT_li
    .private_segment_fixed_size: 0
    .sgpr_count:     16
    .sgpr_spill_count: 0
    .symbol:         _ZL19rocblas_scal_kernelIiLi256E16rocblas_bfloat16ffPS0_EviT3_lT4_lT_li.kd
    .uniform_work_group_size: 1
    .uses_dynamic_stack: false
    .vgpr_count:     5
    .vgpr_spill_count: 0
    .wavefront_size: 64
  - .args:
      - .offset:         0
        .size:           4
        .value_kind:     by_value
      - .address_space:  global
        .offset:         8
        .size:           8
        .value_kind:     global_buffer
      - .offset:         16
        .size:           8
        .value_kind:     by_value
      - .address_space:  global
        .offset:         24
        .size:           8
        .value_kind:     global_buffer
      - .offset:         32
        .size:           8
        .value_kind:     by_value
      - .offset:         40
        .size:           8
        .value_kind:     by_value
      - .offset:         48
        .size:           8
        .value_kind:     by_value
      - .offset:         56
        .size:           4
        .value_kind:     by_value
    .group_segment_fixed_size: 0
    .kernarg_segment_align: 8
    .kernarg_segment_size: 60
    .language:       OpenCL C
    .language_version:
      - 2
      - 0
    .max_flat_workgroup_size: 256
    .name:           _ZL19rocblas_scal_kernelIlLi256E16rocblas_bfloat16fPKfPS0_EviT3_lT4_lT_li
    .private_segment_fixed_size: 0
    .sgpr_count:     20
    .sgpr_spill_count: 0
    .symbol:         _ZL19rocblas_scal_kernelIlLi256E16rocblas_bfloat16fPKfPS0_EviT3_lT4_lT_li.kd
    .uniform_work_group_size: 1
    .uses_dynamic_stack: false
    .vgpr_count:     5
    .vgpr_spill_count: 0
    .wavefront_size: 64
  - .args:
      - .offset:         0
        .size:           4
        .value_kind:     by_value
      - .offset:         4
        .size:           4
        .value_kind:     by_value
      - .offset:         8
        .size:           8
        .value_kind:     by_value
      - .address_space:  global
        .offset:         16
        .size:           8
        .value_kind:     global_buffer
      - .offset:         24
        .size:           8
        .value_kind:     by_value
      - .offset:         32
        .size:           8
        .value_kind:     by_value
      - .offset:         40
        .size:           8
        .value_kind:     by_value
      - .offset:         48
        .size:           4
        .value_kind:     by_value
    .group_segment_fixed_size: 0
    .kernarg_segment_align: 8
    .kernarg_segment_size: 52
    .language:       OpenCL C
    .language_version:
      - 2
      - 0
    .max_flat_workgroup_size: 256
    .name:           _ZL19rocblas_scal_kernelIlLi256E16rocblas_bfloat16ffPS0_EviT3_lT4_lT_li
    .private_segment_fixed_size: 0
    .sgpr_count:     20
    .sgpr_spill_count: 0
    .symbol:         _ZL19rocblas_scal_kernelIlLi256E16rocblas_bfloat16ffPS0_EviT3_lT4_lT_li.kd
    .uniform_work_group_size: 1
    .uses_dynamic_stack: false
    .vgpr_count:     5
    .vgpr_spill_count: 0
    .wavefront_size: 64
  - .args:
      - .offset:         0
        .size:           4
        .value_kind:     by_value
      - .address_space:  global
        .offset:         8
        .size:           8
        .value_kind:     global_buffer
      - .offset:         16
        .size:           8
        .value_kind:     by_value
      - .actual_access:  read_only
        .address_space:  global
        .offset:         24
        .size:           8
        .value_kind:     global_buffer
      - .offset:         32
        .size:           8
        .value_kind:     by_value
      - .offset:         40
        .size:           8
        .value_kind:     by_value
      - .offset:         48
        .size:           4
        .value_kind:     by_value
    .group_segment_fixed_size: 0
    .kernarg_segment_align: 8
    .kernarg_segment_size: 52
    .language:       OpenCL C
    .language_version:
      - 2
      - 0
    .max_flat_workgroup_size: 256
    .name:           _ZL22rocblas_sscal_2_kernelILi256EDF16_fPKDF16_PKPDF16_EviT2_lT3_lli
    .private_segment_fixed_size: 0
    .sgpr_count:     16
    .sgpr_spill_count: 0
    .symbol:         _ZL22rocblas_sscal_2_kernelILi256EDF16_fPKDF16_PKPDF16_EviT2_lT3_lli.kd
    .uniform_work_group_size: 1
    .uses_dynamic_stack: false
    .vgpr_count:     5
    .vgpr_spill_count: 0
    .wavefront_size: 64
  - .args:
      - .offset:         0
        .size:           4
        .value_kind:     by_value
      - .offset:         4
        .size:           2
        .value_kind:     by_value
      - .offset:         8
        .size:           8
        .value_kind:     by_value
      - .actual_access:  read_only
        .address_space:  global
        .offset:         16
        .size:           8
        .value_kind:     global_buffer
      - .offset:         24
        .size:           8
        .value_kind:     by_value
      - .offset:         32
        .size:           8
        .value_kind:     by_value
      - .offset:         40
        .size:           4
        .value_kind:     by_value
    .group_segment_fixed_size: 0
    .kernarg_segment_align: 8
    .kernarg_segment_size: 44
    .language:       OpenCL C
    .language_version:
      - 2
      - 0
    .max_flat_workgroup_size: 256
    .name:           _ZL22rocblas_sscal_2_kernelILi256EDF16_fDF16_PKPDF16_EviT2_lT3_lli
    .private_segment_fixed_size: 0
    .sgpr_count:     16
    .sgpr_spill_count: 0
    .symbol:         _ZL22rocblas_sscal_2_kernelILi256EDF16_fDF16_PKPDF16_EviT2_lT3_lli.kd
    .uniform_work_group_size: 1
    .uses_dynamic_stack: false
    .vgpr_count:     4
    .vgpr_spill_count: 0
    .wavefront_size: 64
  - .args:
      - .offset:         0
        .size:           4
        .value_kind:     by_value
      - .address_space:  global
        .offset:         8
        .size:           8
        .value_kind:     global_buffer
      - .offset:         16
        .size:           8
        .value_kind:     by_value
      - .address_space:  global
        .offset:         24
        .size:           8
        .value_kind:     global_buffer
      - .offset:         32
        .size:           8
        .value_kind:     by_value
      - .offset:         40
        .size:           4
        .value_kind:     by_value
      - .offset:         48
        .size:           8
        .value_kind:     by_value
      - .offset:         56
        .size:           4
        .value_kind:     by_value
    .group_segment_fixed_size: 0
    .kernarg_segment_align: 8
    .kernarg_segment_size: 60
    .language:       OpenCL C
    .language_version:
      - 2
      - 0
    .max_flat_workgroup_size: 256
    .name:           _ZL19rocblas_scal_kernelIiLi256EDF16_fPKDF16_PKPDF16_EviT3_lT4_lT_li
    .private_segment_fixed_size: 0
    .sgpr_count:     20
    .sgpr_spill_count: 0
    .symbol:         _ZL19rocblas_scal_kernelIiLi256EDF16_fPKDF16_PKPDF16_EviT3_lT4_lT_li.kd
    .uniform_work_group_size: 1
    .uses_dynamic_stack: false
    .vgpr_count:     5
    .vgpr_spill_count: 0
    .wavefront_size: 64
  - .args:
      - .offset:         0
        .size:           4
        .value_kind:     by_value
      - .offset:         4
        .size:           2
        .value_kind:     by_value
      - .offset:         8
        .size:           8
        .value_kind:     by_value
      - .address_space:  global
        .offset:         16
        .size:           8
        .value_kind:     global_buffer
      - .offset:         24
        .size:           8
        .value_kind:     by_value
      - .offset:         32
        .size:           4
        .value_kind:     by_value
      - .offset:         40
        .size:           8
        .value_kind:     by_value
      - .offset:         48
        .size:           4
        .value_kind:     by_value
    .group_segment_fixed_size: 0
    .kernarg_segment_align: 8
    .kernarg_segment_size: 52
    .language:       OpenCL C
    .language_version:
      - 2
      - 0
    .max_flat_workgroup_size: 256
    .name:           _ZL19rocblas_scal_kernelIiLi256EDF16_fDF16_PKPDF16_EviT3_lT4_lT_li
    .private_segment_fixed_size: 0
    .sgpr_count:     16
    .sgpr_spill_count: 0
    .symbol:         _ZL19rocblas_scal_kernelIiLi256EDF16_fDF16_PKPDF16_EviT3_lT4_lT_li.kd
    .uniform_work_group_size: 1
    .uses_dynamic_stack: false
    .vgpr_count:     4
    .vgpr_spill_count: 0
    .wavefront_size: 64
  - .args:
      - .offset:         0
        .size:           4
        .value_kind:     by_value
      - .address_space:  global
        .offset:         8
        .size:           8
        .value_kind:     global_buffer
      - .offset:         16
        .size:           8
        .value_kind:     by_value
      - .address_space:  global
        .offset:         24
        .size:           8
        .value_kind:     global_buffer
      - .offset:         32
        .size:           8
        .value_kind:     by_value
      - .offset:         40
        .size:           8
        .value_kind:     by_value
      - .offset:         48
        .size:           8
        .value_kind:     by_value
      - .offset:         56
        .size:           4
        .value_kind:     by_value
    .group_segment_fixed_size: 0
    .kernarg_segment_align: 8
    .kernarg_segment_size: 60
    .language:       OpenCL C
    .language_version:
      - 2
      - 0
    .max_flat_workgroup_size: 256
    .name:           _ZL19rocblas_scal_kernelIlLi256EDF16_fPKDF16_PKPDF16_EviT3_lT4_lT_li
    .private_segment_fixed_size: 0
    .sgpr_count:     20
    .sgpr_spill_count: 0
    .symbol:         _ZL19rocblas_scal_kernelIlLi256EDF16_fPKDF16_PKPDF16_EviT3_lT4_lT_li.kd
    .uniform_work_group_size: 1
    .uses_dynamic_stack: false
    .vgpr_count:     5
    .vgpr_spill_count: 0
    .wavefront_size: 64
  - .args:
      - .offset:         0
        .size:           4
        .value_kind:     by_value
      - .offset:         4
        .size:           2
        .value_kind:     by_value
      - .offset:         8
        .size:           8
        .value_kind:     by_value
      - .address_space:  global
        .offset:         16
        .size:           8
        .value_kind:     global_buffer
      - .offset:         24
        .size:           8
        .value_kind:     by_value
      - .offset:         32
        .size:           8
        .value_kind:     by_value
      - .offset:         40
        .size:           8
        .value_kind:     by_value
      - .offset:         48
        .size:           4
        .value_kind:     by_value
    .group_segment_fixed_size: 0
    .kernarg_segment_align: 8
    .kernarg_segment_size: 52
    .language:       OpenCL C
    .language_version:
      - 2
      - 0
    .max_flat_workgroup_size: 256
    .name:           _ZL19rocblas_scal_kernelIlLi256EDF16_fDF16_PKPDF16_EviT3_lT4_lT_li
    .private_segment_fixed_size: 0
    .sgpr_count:     16
    .sgpr_spill_count: 0
    .symbol:         _ZL19rocblas_scal_kernelIlLi256EDF16_fDF16_PKPDF16_EviT3_lT4_lT_li.kd
    .uniform_work_group_size: 1
    .uses_dynamic_stack: false
    .vgpr_count:     4
    .vgpr_spill_count: 0
    .wavefront_size: 64
  - .args:
      - .offset:         0
        .size:           4
        .value_kind:     by_value
      - .address_space:  global
        .offset:         8
        .size:           8
        .value_kind:     global_buffer
      - .offset:         16
        .size:           8
        .value_kind:     by_value
      - .actual_access:  read_only
        .address_space:  global
        .offset:         24
        .size:           8
        .value_kind:     global_buffer
      - .offset:         32
        .size:           8
        .value_kind:     by_value
      - .offset:         40
        .size:           8
        .value_kind:     by_value
      - .offset:         48
        .size:           4
        .value_kind:     by_value
    .group_segment_fixed_size: 0
    .kernarg_segment_align: 8
    .kernarg_segment_size: 52
    .language:       OpenCL C
    .language_version:
      - 2
      - 0
    .max_flat_workgroup_size: 256
    .name:           _ZL22rocblas_sscal_2_kernelILi256EDF16_fPKfPKPDF16_EviT2_lT3_lli
    .private_segment_fixed_size: 0
    .sgpr_count:     16
    .sgpr_spill_count: 0
    .symbol:         _ZL22rocblas_sscal_2_kernelILi256EDF16_fPKfPKPDF16_EviT2_lT3_lli.kd
    .uniform_work_group_size: 1
    .uses_dynamic_stack: false
    .vgpr_count:     5
    .vgpr_spill_count: 0
    .wavefront_size: 64
  - .args:
      - .offset:         0
        .size:           4
        .value_kind:     by_value
      - .offset:         4
        .size:           4
        .value_kind:     by_value
      - .offset:         8
        .size:           8
        .value_kind:     by_value
      - .actual_access:  read_only
        .address_space:  global
        .offset:         16
        .size:           8
        .value_kind:     global_buffer
      - .offset:         24
        .size:           8
        .value_kind:     by_value
      - .offset:         32
        .size:           8
        .value_kind:     by_value
      - .offset:         40
        .size:           4
        .value_kind:     by_value
    .group_segment_fixed_size: 0
    .kernarg_segment_align: 8
    .kernarg_segment_size: 44
    .language:       OpenCL C
    .language_version:
      - 2
      - 0
    .max_flat_workgroup_size: 256
    .name:           _ZL22rocblas_sscal_2_kernelILi256EDF16_ffPKPDF16_EviT2_lT3_lli
    .private_segment_fixed_size: 0
    .sgpr_count:     16
    .sgpr_spill_count: 0
    .symbol:         _ZL22rocblas_sscal_2_kernelILi256EDF16_ffPKPDF16_EviT2_lT3_lli.kd
    .uniform_work_group_size: 1
    .uses_dynamic_stack: false
    .vgpr_count:     5
    .vgpr_spill_count: 0
    .wavefront_size: 64
  - .args:
      - .offset:         0
        .size:           4
        .value_kind:     by_value
      - .address_space:  global
        .offset:         8
        .size:           8
        .value_kind:     global_buffer
      - .offset:         16
        .size:           8
        .value_kind:     by_value
      - .address_space:  global
        .offset:         24
        .size:           8
        .value_kind:     global_buffer
      - .offset:         32
        .size:           8
        .value_kind:     by_value
      - .offset:         40
        .size:           4
        .value_kind:     by_value
      - .offset:         48
        .size:           8
        .value_kind:     by_value
      - .offset:         56
        .size:           4
        .value_kind:     by_value
    .group_segment_fixed_size: 0
    .kernarg_segment_align: 8
    .kernarg_segment_size: 60
    .language:       OpenCL C
    .language_version:
      - 2
      - 0
    .max_flat_workgroup_size: 256
    .name:           _ZL19rocblas_scal_kernelIiLi256EDF16_fPKfPKPDF16_EviT3_lT4_lT_li
    .private_segment_fixed_size: 0
    .sgpr_count:     20
    .sgpr_spill_count: 0
    .symbol:         _ZL19rocblas_scal_kernelIiLi256EDF16_fPKfPKPDF16_EviT3_lT4_lT_li.kd
    .uniform_work_group_size: 1
    .uses_dynamic_stack: false
    .vgpr_count:     4
    .vgpr_spill_count: 0
    .wavefront_size: 64
  - .args:
      - .offset:         0
        .size:           4
        .value_kind:     by_value
      - .offset:         4
        .size:           4
        .value_kind:     by_value
      - .offset:         8
        .size:           8
        .value_kind:     by_value
      - .address_space:  global
        .offset:         16
        .size:           8
        .value_kind:     global_buffer
      - .offset:         24
        .size:           8
        .value_kind:     by_value
      - .offset:         32
        .size:           4
        .value_kind:     by_value
      - .offset:         40
        .size:           8
        .value_kind:     by_value
      - .offset:         48
        .size:           4
        .value_kind:     by_value
    .group_segment_fixed_size: 0
    .kernarg_segment_align: 8
    .kernarg_segment_size: 52
    .language:       OpenCL C
    .language_version:
      - 2
      - 0
    .max_flat_workgroup_size: 256
    .name:           _ZL19rocblas_scal_kernelIiLi256EDF16_ffPKPDF16_EviT3_lT4_lT_li
    .private_segment_fixed_size: 0
    .sgpr_count:     16
    .sgpr_spill_count: 0
    .symbol:         _ZL19rocblas_scal_kernelIiLi256EDF16_ffPKPDF16_EviT3_lT4_lT_li.kd
    .uniform_work_group_size: 1
    .uses_dynamic_stack: false
    .vgpr_count:     4
    .vgpr_spill_count: 0
    .wavefront_size: 64
  - .args:
      - .offset:         0
        .size:           4
        .value_kind:     by_value
      - .address_space:  global
        .offset:         8
        .size:           8
        .value_kind:     global_buffer
      - .offset:         16
        .size:           8
        .value_kind:     by_value
      - .address_space:  global
        .offset:         24
        .size:           8
        .value_kind:     global_buffer
      - .offset:         32
        .size:           8
        .value_kind:     by_value
      - .offset:         40
        .size:           8
        .value_kind:     by_value
      - .offset:         48
        .size:           8
        .value_kind:     by_value
      - .offset:         56
        .size:           4
        .value_kind:     by_value
    .group_segment_fixed_size: 0
    .kernarg_segment_align: 8
    .kernarg_segment_size: 60
    .language:       OpenCL C
    .language_version:
      - 2
      - 0
    .max_flat_workgroup_size: 256
    .name:           _ZL19rocblas_scal_kernelIlLi256EDF16_fPKfPKPDF16_EviT3_lT4_lT_li
    .private_segment_fixed_size: 0
    .sgpr_count:     20
    .sgpr_spill_count: 0
    .symbol:         _ZL19rocblas_scal_kernelIlLi256EDF16_fPKfPKPDF16_EviT3_lT4_lT_li.kd
    .uniform_work_group_size: 1
    .uses_dynamic_stack: false
    .vgpr_count:     4
    .vgpr_spill_count: 0
    .wavefront_size: 64
  - .args:
      - .offset:         0
        .size:           4
        .value_kind:     by_value
      - .offset:         4
        .size:           4
        .value_kind:     by_value
      - .offset:         8
        .size:           8
        .value_kind:     by_value
      - .address_space:  global
        .offset:         16
        .size:           8
        .value_kind:     global_buffer
      - .offset:         24
        .size:           8
        .value_kind:     by_value
      - .offset:         32
        .size:           8
        .value_kind:     by_value
      - .offset:         40
        .size:           8
        .value_kind:     by_value
      - .offset:         48
        .size:           4
        .value_kind:     by_value
    .group_segment_fixed_size: 0
    .kernarg_segment_align: 8
    .kernarg_segment_size: 52
    .language:       OpenCL C
    .language_version:
      - 2
      - 0
    .max_flat_workgroup_size: 256
    .name:           _ZL19rocblas_scal_kernelIlLi256EDF16_ffPKPDF16_EviT3_lT4_lT_li
    .private_segment_fixed_size: 0
    .sgpr_count:     16
    .sgpr_spill_count: 0
    .symbol:         _ZL19rocblas_scal_kernelIlLi256EDF16_ffPKPDF16_EviT3_lT4_lT_li.kd
    .uniform_work_group_size: 1
    .uses_dynamic_stack: false
    .vgpr_count:     4
    .vgpr_spill_count: 0
    .wavefront_size: 64
  - .args:
      - .offset:         0
        .size:           4
        .value_kind:     by_value
      - .address_space:  global
        .offset:         8
        .size:           8
        .value_kind:     global_buffer
      - .offset:         16
        .size:           8
        .value_kind:     by_value
      - .actual_access:  read_only
        .address_space:  global
        .offset:         24
        .size:           8
        .value_kind:     global_buffer
      - .offset:         32
        .size:           8
        .value_kind:     by_value
      - .offset:         40
        .size:           8
        .value_kind:     by_value
      - .offset:         48
        .size:           4
        .value_kind:     by_value
    .group_segment_fixed_size: 0
    .kernarg_segment_align: 8
    .kernarg_segment_size: 52
    .language:       OpenCL C
    .language_version:
      - 2
      - 0
    .max_flat_workgroup_size: 256
    .name:           _ZL22rocblas_sscal_2_kernelILi256E16rocblas_bfloat16fPKS0_PKPS0_EviT2_lT3_lli
    .private_segment_fixed_size: 0
    .sgpr_count:     16
    .sgpr_spill_count: 0
    .symbol:         _ZL22rocblas_sscal_2_kernelILi256E16rocblas_bfloat16fPKS0_PKPS0_EviT2_lT3_lli.kd
    .uniform_work_group_size: 1
    .uses_dynamic_stack: false
    .vgpr_count:     7
    .vgpr_spill_count: 0
    .wavefront_size: 64
  - .args:
      - .offset:         0
        .size:           4
        .value_kind:     by_value
      - .offset:         4
        .size:           2
        .value_kind:     by_value
      - .offset:         8
        .size:           8
        .value_kind:     by_value
      - .actual_access:  read_only
        .address_space:  global
        .offset:         16
        .size:           8
        .value_kind:     global_buffer
      - .offset:         24
        .size:           8
        .value_kind:     by_value
      - .offset:         32
        .size:           8
        .value_kind:     by_value
      - .offset:         40
        .size:           4
        .value_kind:     by_value
    .group_segment_fixed_size: 0
    .kernarg_segment_align: 8
    .kernarg_segment_size: 44
    .language:       OpenCL C
    .language_version:
      - 2
      - 0
    .max_flat_workgroup_size: 256
    .name:           _ZL22rocblas_sscal_2_kernelILi256E16rocblas_bfloat16fS0_PKPS0_EviT2_lT3_lli
    .private_segment_fixed_size: 0
    .sgpr_count:     16
    .sgpr_spill_count: 0
    .symbol:         _ZL22rocblas_sscal_2_kernelILi256E16rocblas_bfloat16fS0_PKPS0_EviT2_lT3_lli.kd
    .uniform_work_group_size: 1
    .uses_dynamic_stack: false
    .vgpr_count:     6
    .vgpr_spill_count: 0
    .wavefront_size: 64
  - .args:
      - .offset:         0
        .size:           4
        .value_kind:     by_value
      - .address_space:  global
        .offset:         8
        .size:           8
        .value_kind:     global_buffer
      - .offset:         16
        .size:           8
        .value_kind:     by_value
      - .address_space:  global
        .offset:         24
        .size:           8
        .value_kind:     global_buffer
      - .offset:         32
        .size:           8
        .value_kind:     by_value
      - .offset:         40
        .size:           4
        .value_kind:     by_value
      - .offset:         48
        .size:           8
        .value_kind:     by_value
      - .offset:         56
        .size:           4
        .value_kind:     by_value
    .group_segment_fixed_size: 0
    .kernarg_segment_align: 8
    .kernarg_segment_size: 60
    .language:       OpenCL C
    .language_version:
      - 2
      - 0
    .max_flat_workgroup_size: 256
    .name:           _ZL19rocblas_scal_kernelIiLi256E16rocblas_bfloat16fPKS0_PKPS0_EviT3_lT4_lT_li
    .private_segment_fixed_size: 0
    .sgpr_count:     20
    .sgpr_spill_count: 0
    .symbol:         _ZL19rocblas_scal_kernelIiLi256E16rocblas_bfloat16fPKS0_PKPS0_EviT3_lT4_lT_li.kd
    .uniform_work_group_size: 1
    .uses_dynamic_stack: false
    .vgpr_count:     5
    .vgpr_spill_count: 0
    .wavefront_size: 64
  - .args:
      - .offset:         0
        .size:           4
        .value_kind:     by_value
      - .offset:         4
        .size:           2
        .value_kind:     by_value
      - .offset:         8
        .size:           8
        .value_kind:     by_value
      - .address_space:  global
        .offset:         16
        .size:           8
        .value_kind:     global_buffer
      - .offset:         24
        .size:           8
        .value_kind:     by_value
      - .offset:         32
        .size:           4
        .value_kind:     by_value
      - .offset:         40
        .size:           8
        .value_kind:     by_value
      - .offset:         48
        .size:           4
        .value_kind:     by_value
    .group_segment_fixed_size: 0
    .kernarg_segment_align: 8
    .kernarg_segment_size: 52
    .language:       OpenCL C
    .language_version:
      - 2
      - 0
    .max_flat_workgroup_size: 256
    .name:           _ZL19rocblas_scal_kernelIiLi256E16rocblas_bfloat16fS0_PKPS0_EviT3_lT4_lT_li
    .private_segment_fixed_size: 0
    .sgpr_count:     16
    .sgpr_spill_count: 0
    .symbol:         _ZL19rocblas_scal_kernelIiLi256E16rocblas_bfloat16fS0_PKPS0_EviT3_lT4_lT_li.kd
    .uniform_work_group_size: 1
    .uses_dynamic_stack: false
    .vgpr_count:     5
    .vgpr_spill_count: 0
    .wavefront_size: 64
  - .args:
      - .offset:         0
        .size:           4
        .value_kind:     by_value
      - .address_space:  global
        .offset:         8
        .size:           8
        .value_kind:     global_buffer
      - .offset:         16
        .size:           8
        .value_kind:     by_value
      - .address_space:  global
        .offset:         24
        .size:           8
        .value_kind:     global_buffer
      - .offset:         32
        .size:           8
        .value_kind:     by_value
      - .offset:         40
        .size:           8
        .value_kind:     by_value
      - .offset:         48
        .size:           8
        .value_kind:     by_value
      - .offset:         56
        .size:           4
        .value_kind:     by_value
    .group_segment_fixed_size: 0
    .kernarg_segment_align: 8
    .kernarg_segment_size: 60
    .language:       OpenCL C
    .language_version:
      - 2
      - 0
    .max_flat_workgroup_size: 256
    .name:           _ZL19rocblas_scal_kernelIlLi256E16rocblas_bfloat16fPKS0_PKPS0_EviT3_lT4_lT_li
    .private_segment_fixed_size: 0
    .sgpr_count:     20
    .sgpr_spill_count: 0
    .symbol:         _ZL19rocblas_scal_kernelIlLi256E16rocblas_bfloat16fPKS0_PKPS0_EviT3_lT4_lT_li.kd
    .uniform_work_group_size: 1
    .uses_dynamic_stack: false
    .vgpr_count:     5
    .vgpr_spill_count: 0
    .wavefront_size: 64
  - .args:
      - .offset:         0
        .size:           4
        .value_kind:     by_value
      - .offset:         4
        .size:           2
        .value_kind:     by_value
      - .offset:         8
        .size:           8
        .value_kind:     by_value
      - .address_space:  global
        .offset:         16
        .size:           8
        .value_kind:     global_buffer
      - .offset:         24
        .size:           8
        .value_kind:     by_value
      - .offset:         32
        .size:           8
        .value_kind:     by_value
      - .offset:         40
        .size:           8
        .value_kind:     by_value
      - .offset:         48
        .size:           4
        .value_kind:     by_value
    .group_segment_fixed_size: 0
    .kernarg_segment_align: 8
    .kernarg_segment_size: 52
    .language:       OpenCL C
    .language_version:
      - 2
      - 0
    .max_flat_workgroup_size: 256
    .name:           _ZL19rocblas_scal_kernelIlLi256E16rocblas_bfloat16fS0_PKPS0_EviT3_lT4_lT_li
    .private_segment_fixed_size: 0
    .sgpr_count:     16
    .sgpr_spill_count: 0
    .symbol:         _ZL19rocblas_scal_kernelIlLi256E16rocblas_bfloat16fS0_PKPS0_EviT3_lT4_lT_li.kd
    .uniform_work_group_size: 1
    .uses_dynamic_stack: false
    .vgpr_count:     5
    .vgpr_spill_count: 0
    .wavefront_size: 64
  - .args:
      - .offset:         0
        .size:           4
        .value_kind:     by_value
      - .address_space:  global
        .offset:         8
        .size:           8
        .value_kind:     global_buffer
      - .offset:         16
        .size:           8
        .value_kind:     by_value
      - .actual_access:  read_only
        .address_space:  global
        .offset:         24
        .size:           8
        .value_kind:     global_buffer
      - .offset:         32
        .size:           8
        .value_kind:     by_value
      - .offset:         40
        .size:           8
        .value_kind:     by_value
      - .offset:         48
        .size:           4
        .value_kind:     by_value
    .group_segment_fixed_size: 0
    .kernarg_segment_align: 8
    .kernarg_segment_size: 52
    .language:       OpenCL C
    .language_version:
      - 2
      - 0
    .max_flat_workgroup_size: 256
    .name:           _ZL22rocblas_sscal_2_kernelILi256E16rocblas_bfloat16fPKfPKPS0_EviT2_lT3_lli
    .private_segment_fixed_size: 0
    .sgpr_count:     16
    .sgpr_spill_count: 0
    .symbol:         _ZL22rocblas_sscal_2_kernelILi256E16rocblas_bfloat16fPKfPKPS0_EviT2_lT3_lli.kd
    .uniform_work_group_size: 1
    .uses_dynamic_stack: false
    .vgpr_count:     6
    .vgpr_spill_count: 0
    .wavefront_size: 64
  - .args:
      - .offset:         0
        .size:           4
        .value_kind:     by_value
      - .offset:         4
        .size:           4
        .value_kind:     by_value
      - .offset:         8
        .size:           8
        .value_kind:     by_value
      - .actual_access:  read_only
        .address_space:  global
        .offset:         16
        .size:           8
        .value_kind:     global_buffer
      - .offset:         24
        .size:           8
        .value_kind:     by_value
      - .offset:         32
        .size:           8
        .value_kind:     by_value
      - .offset:         40
        .size:           4
        .value_kind:     by_value
    .group_segment_fixed_size: 0
    .kernarg_segment_align: 8
    .kernarg_segment_size: 44
    .language:       OpenCL C
    .language_version:
      - 2
      - 0
    .max_flat_workgroup_size: 256
    .name:           _ZL22rocblas_sscal_2_kernelILi256E16rocblas_bfloat16ffPKPS0_EviT2_lT3_lli
    .private_segment_fixed_size: 0
    .sgpr_count:     16
    .sgpr_spill_count: 0
    .symbol:         _ZL22rocblas_sscal_2_kernelILi256E16rocblas_bfloat16ffPKPS0_EviT2_lT3_lli.kd
    .uniform_work_group_size: 1
    .uses_dynamic_stack: false
    .vgpr_count:     6
    .vgpr_spill_count: 0
    .wavefront_size: 64
  - .args:
      - .offset:         0
        .size:           4
        .value_kind:     by_value
      - .address_space:  global
        .offset:         8
        .size:           8
        .value_kind:     global_buffer
      - .offset:         16
        .size:           8
        .value_kind:     by_value
      - .address_space:  global
        .offset:         24
        .size:           8
        .value_kind:     global_buffer
      - .offset:         32
        .size:           8
        .value_kind:     by_value
      - .offset:         40
        .size:           4
        .value_kind:     by_value
      - .offset:         48
        .size:           8
        .value_kind:     by_value
      - .offset:         56
        .size:           4
        .value_kind:     by_value
    .group_segment_fixed_size: 0
    .kernarg_segment_align: 8
    .kernarg_segment_size: 60
    .language:       OpenCL C
    .language_version:
      - 2
      - 0
    .max_flat_workgroup_size: 256
    .name:           _ZL19rocblas_scal_kernelIiLi256E16rocblas_bfloat16fPKfPKPS0_EviT3_lT4_lT_li
    .private_segment_fixed_size: 0
    .sgpr_count:     20
    .sgpr_spill_count: 0
    .symbol:         _ZL19rocblas_scal_kernelIiLi256E16rocblas_bfloat16fPKfPKPS0_EviT3_lT4_lT_li.kd
    .uniform_work_group_size: 1
    .uses_dynamic_stack: false
    .vgpr_count:     5
    .vgpr_spill_count: 0
    .wavefront_size: 64
  - .args:
      - .offset:         0
        .size:           4
        .value_kind:     by_value
      - .offset:         4
        .size:           4
        .value_kind:     by_value
      - .offset:         8
        .size:           8
        .value_kind:     by_value
      - .address_space:  global
        .offset:         16
        .size:           8
        .value_kind:     global_buffer
      - .offset:         24
        .size:           8
        .value_kind:     by_value
      - .offset:         32
        .size:           4
        .value_kind:     by_value
      - .offset:         40
        .size:           8
        .value_kind:     by_value
      - .offset:         48
        .size:           4
        .value_kind:     by_value
    .group_segment_fixed_size: 0
    .kernarg_segment_align: 8
    .kernarg_segment_size: 52
    .language:       OpenCL C
    .language_version:
      - 2
      - 0
    .max_flat_workgroup_size: 256
    .name:           _ZL19rocblas_scal_kernelIiLi256E16rocblas_bfloat16ffPKPS0_EviT3_lT4_lT_li
    .private_segment_fixed_size: 0
    .sgpr_count:     16
    .sgpr_spill_count: 0
    .symbol:         _ZL19rocblas_scal_kernelIiLi256E16rocblas_bfloat16ffPKPS0_EviT3_lT4_lT_li.kd
    .uniform_work_group_size: 1
    .uses_dynamic_stack: false
    .vgpr_count:     5
    .vgpr_spill_count: 0
    .wavefront_size: 64
  - .args:
      - .offset:         0
        .size:           4
        .value_kind:     by_value
      - .address_space:  global
        .offset:         8
        .size:           8
        .value_kind:     global_buffer
      - .offset:         16
        .size:           8
        .value_kind:     by_value
      - .address_space:  global
        .offset:         24
        .size:           8
        .value_kind:     global_buffer
      - .offset:         32
        .size:           8
        .value_kind:     by_value
      - .offset:         40
        .size:           8
        .value_kind:     by_value
      - .offset:         48
        .size:           8
        .value_kind:     by_value
      - .offset:         56
        .size:           4
        .value_kind:     by_value
    .group_segment_fixed_size: 0
    .kernarg_segment_align: 8
    .kernarg_segment_size: 60
    .language:       OpenCL C
    .language_version:
      - 2
      - 0
    .max_flat_workgroup_size: 256
    .name:           _ZL19rocblas_scal_kernelIlLi256E16rocblas_bfloat16fPKfPKPS0_EviT3_lT4_lT_li
    .private_segment_fixed_size: 0
    .sgpr_count:     20
    .sgpr_spill_count: 0
    .symbol:         _ZL19rocblas_scal_kernelIlLi256E16rocblas_bfloat16fPKfPKPS0_EviT3_lT4_lT_li.kd
    .uniform_work_group_size: 1
    .uses_dynamic_stack: false
    .vgpr_count:     5
    .vgpr_spill_count: 0
    .wavefront_size: 64
  - .args:
      - .offset:         0
        .size:           4
        .value_kind:     by_value
      - .offset:         4
        .size:           4
        .value_kind:     by_value
      - .offset:         8
        .size:           8
        .value_kind:     by_value
      - .address_space:  global
        .offset:         16
        .size:           8
        .value_kind:     global_buffer
      - .offset:         24
        .size:           8
        .value_kind:     by_value
      - .offset:         32
        .size:           8
        .value_kind:     by_value
      - .offset:         40
        .size:           8
        .value_kind:     by_value
      - .offset:         48
        .size:           4
        .value_kind:     by_value
    .group_segment_fixed_size: 0
    .kernarg_segment_align: 8
    .kernarg_segment_size: 52
    .language:       OpenCL C
    .language_version:
      - 2
      - 0
    .max_flat_workgroup_size: 256
    .name:           _ZL19rocblas_scal_kernelIlLi256E16rocblas_bfloat16ffPKPS0_EviT3_lT4_lT_li
    .private_segment_fixed_size: 0
    .sgpr_count:     16
    .sgpr_spill_count: 0
    .symbol:         _ZL19rocblas_scal_kernelIlLi256E16rocblas_bfloat16ffPKPS0_EviT3_lT4_lT_li.kd
    .uniform_work_group_size: 1
    .uses_dynamic_stack: false
    .vgpr_count:     5
    .vgpr_spill_count: 0
    .wavefront_size: 64
  - .args:
      - .offset:         0
        .size:           4
        .value_kind:     by_value
      - .address_space:  global
        .offset:         8
        .size:           8
        .value_kind:     global_buffer
      - .offset:         16
        .size:           8
        .value_kind:     by_value
      - .address_space:  global
        .offset:         24
        .size:           8
        .value_kind:     global_buffer
      - .offset:         32
        .size:           8
        .value_kind:     by_value
      - .offset:         40
        .size:           8
        .value_kind:     by_value
      - .offset:         48
        .size:           4
        .value_kind:     by_value
    .group_segment_fixed_size: 0
    .kernarg_segment_align: 8
    .kernarg_segment_size: 52
    .language:       OpenCL C
    .language_version:
      - 2
      - 0
    .max_flat_workgroup_size: 256
    .name:           _ZL22rocblas_sscal_2_kernelILi256EddPKdPdEviT2_lT3_lli
    .private_segment_fixed_size: 0
    .sgpr_count:     20
    .sgpr_spill_count: 0
    .symbol:         _ZL22rocblas_sscal_2_kernelILi256EddPKdPdEviT2_lT3_lli.kd
    .uniform_work_group_size: 1
    .uses_dynamic_stack: false
    .vgpr_count:     7
    .vgpr_spill_count: 0
    .wavefront_size: 64
  - .args:
      - .offset:         0
        .size:           4
        .value_kind:     by_value
      - .offset:         8
        .size:           8
        .value_kind:     by_value
      - .offset:         16
        .size:           8
        .value_kind:     by_value
      - .address_space:  global
        .offset:         24
        .size:           8
        .value_kind:     global_buffer
      - .offset:         32
        .size:           8
        .value_kind:     by_value
      - .offset:         40
        .size:           8
        .value_kind:     by_value
      - .offset:         48
        .size:           4
        .value_kind:     by_value
    .group_segment_fixed_size: 0
    .kernarg_segment_align: 8
    .kernarg_segment_size: 52
    .language:       OpenCL C
    .language_version:
      - 2
      - 0
    .max_flat_workgroup_size: 256
    .name:           _ZL22rocblas_sscal_2_kernelILi256EdddPdEviT2_lT3_lli
    .private_segment_fixed_size: 0
    .sgpr_count:     20
    .sgpr_spill_count: 0
    .symbol:         _ZL22rocblas_sscal_2_kernelILi256EdddPdEviT2_lT3_lli.kd
    .uniform_work_group_size: 1
    .uses_dynamic_stack: false
    .vgpr_count:     7
    .vgpr_spill_count: 0
    .wavefront_size: 64
  - .args:
      - .offset:         0
        .size:           4
        .value_kind:     by_value
      - .address_space:  global
        .offset:         8
        .size:           8
        .value_kind:     global_buffer
      - .offset:         16
        .size:           8
        .value_kind:     by_value
      - .address_space:  global
        .offset:         24
        .size:           8
        .value_kind:     global_buffer
      - .offset:         32
        .size:           8
        .value_kind:     by_value
      - .offset:         40
        .size:           4
        .value_kind:     by_value
      - .offset:         48
        .size:           8
        .value_kind:     by_value
      - .offset:         56
        .size:           4
        .value_kind:     by_value
    .group_segment_fixed_size: 0
    .kernarg_segment_align: 8
    .kernarg_segment_size: 60
    .language:       OpenCL C
    .language_version:
      - 2
      - 0
    .max_flat_workgroup_size: 256
    .name:           _ZL19rocblas_scal_kernelIiLi256EddPKdPdEviT3_lT4_lT_li
    .private_segment_fixed_size: 0
    .sgpr_count:     20
    .sgpr_spill_count: 0
    .symbol:         _ZL19rocblas_scal_kernelIiLi256EddPKdPdEviT3_lT4_lT_li.kd
    .uniform_work_group_size: 1
    .uses_dynamic_stack: false
    .vgpr_count:     4
    .vgpr_spill_count: 0
    .wavefront_size: 64
  - .args:
      - .offset:         0
        .size:           4
        .value_kind:     by_value
      - .offset:         8
        .size:           8
        .value_kind:     by_value
      - .offset:         16
        .size:           8
        .value_kind:     by_value
      - .address_space:  global
        .offset:         24
        .size:           8
        .value_kind:     global_buffer
      - .offset:         32
        .size:           8
        .value_kind:     by_value
      - .offset:         40
        .size:           4
        .value_kind:     by_value
      - .offset:         48
        .size:           8
        .value_kind:     by_value
      - .offset:         56
        .size:           4
        .value_kind:     by_value
    .group_segment_fixed_size: 0
    .kernarg_segment_align: 8
    .kernarg_segment_size: 60
    .language:       OpenCL C
    .language_version:
      - 2
      - 0
    .max_flat_workgroup_size: 256
    .name:           _ZL19rocblas_scal_kernelIiLi256EdddPdEviT3_lT4_lT_li
    .private_segment_fixed_size: 0
    .sgpr_count:     17
    .sgpr_spill_count: 0
    .symbol:         _ZL19rocblas_scal_kernelIiLi256EdddPdEviT3_lT4_lT_li.kd
    .uniform_work_group_size: 1
    .uses_dynamic_stack: false
    .vgpr_count:     4
    .vgpr_spill_count: 0
    .wavefront_size: 64
  - .args:
      - .offset:         0
        .size:           4
        .value_kind:     by_value
      - .address_space:  global
        .offset:         8
        .size:           8
        .value_kind:     global_buffer
      - .offset:         16
        .size:           8
        .value_kind:     by_value
      - .address_space:  global
        .offset:         24
        .size:           8
        .value_kind:     global_buffer
      - .offset:         32
        .size:           8
        .value_kind:     by_value
      - .offset:         40
        .size:           8
        .value_kind:     by_value
      - .offset:         48
        .size:           8
        .value_kind:     by_value
      - .offset:         56
        .size:           4
        .value_kind:     by_value
    .group_segment_fixed_size: 0
    .kernarg_segment_align: 8
    .kernarg_segment_size: 60
    .language:       OpenCL C
    .language_version:
      - 2
      - 0
    .max_flat_workgroup_size: 256
    .name:           _ZL19rocblas_scal_kernelIlLi256EddPKdPdEviT3_lT4_lT_li
    .private_segment_fixed_size: 0
    .sgpr_count:     20
    .sgpr_spill_count: 0
    .symbol:         _ZL19rocblas_scal_kernelIlLi256EddPKdPdEviT3_lT4_lT_li.kd
    .uniform_work_group_size: 1
    .uses_dynamic_stack: false
    .vgpr_count:     4
    .vgpr_spill_count: 0
    .wavefront_size: 64
  - .args:
      - .offset:         0
        .size:           4
        .value_kind:     by_value
      - .offset:         8
        .size:           8
        .value_kind:     by_value
      - .offset:         16
        .size:           8
        .value_kind:     by_value
      - .address_space:  global
        .offset:         24
        .size:           8
        .value_kind:     global_buffer
      - .offset:         32
        .size:           8
        .value_kind:     by_value
      - .offset:         40
        .size:           8
        .value_kind:     by_value
      - .offset:         48
        .size:           8
        .value_kind:     by_value
      - .offset:         56
        .size:           4
        .value_kind:     by_value
    .group_segment_fixed_size: 0
    .kernarg_segment_align: 8
    .kernarg_segment_size: 60
    .language:       OpenCL C
    .language_version:
      - 2
      - 0
    .max_flat_workgroup_size: 256
    .name:           _ZL19rocblas_scal_kernelIlLi256EdddPdEviT3_lT4_lT_li
    .private_segment_fixed_size: 0
    .sgpr_count:     20
    .sgpr_spill_count: 0
    .symbol:         _ZL19rocblas_scal_kernelIlLi256EdddPdEviT3_lT4_lT_li.kd
    .uniform_work_group_size: 1
    .uses_dynamic_stack: false
    .vgpr_count:     4
    .vgpr_spill_count: 0
    .wavefront_size: 64
  - .args:
      - .offset:         0
        .size:           4
        .value_kind:     by_value
      - .address_space:  global
        .offset:         8
        .size:           8
        .value_kind:     global_buffer
      - .offset:         16
        .size:           8
        .value_kind:     by_value
      - .actual_access:  read_only
        .address_space:  global
        .offset:         24
        .size:           8
        .value_kind:     global_buffer
      - .offset:         32
        .size:           8
        .value_kind:     by_value
      - .offset:         40
        .size:           8
        .value_kind:     by_value
      - .offset:         48
        .size:           4
        .value_kind:     by_value
    .group_segment_fixed_size: 0
    .kernarg_segment_align: 8
    .kernarg_segment_size: 52
    .language:       OpenCL C
    .language_version:
      - 2
      - 0
    .max_flat_workgroup_size: 256
    .name:           _ZL22rocblas_sscal_2_kernelILi256EddPKdPKPdEviT2_lT3_lli
    .private_segment_fixed_size: 0
    .sgpr_count:     16
    .sgpr_spill_count: 0
    .symbol:         _ZL22rocblas_sscal_2_kernelILi256EddPKdPKPdEviT2_lT3_lli.kd
    .uniform_work_group_size: 1
    .uses_dynamic_stack: false
    .vgpr_count:     7
    .vgpr_spill_count: 0
    .wavefront_size: 64
  - .args:
      - .offset:         0
        .size:           4
        .value_kind:     by_value
      - .offset:         8
        .size:           8
        .value_kind:     by_value
      - .offset:         16
        .size:           8
        .value_kind:     by_value
      - .actual_access:  read_only
        .address_space:  global
        .offset:         24
        .size:           8
        .value_kind:     global_buffer
      - .offset:         32
        .size:           8
        .value_kind:     by_value
      - .offset:         40
        .size:           8
        .value_kind:     by_value
      - .offset:         48
        .size:           4
        .value_kind:     by_value
    .group_segment_fixed_size: 0
    .kernarg_segment_align: 8
    .kernarg_segment_size: 52
    .language:       OpenCL C
    .language_version:
      - 2
      - 0
    .max_flat_workgroup_size: 256
    .name:           _ZL22rocblas_sscal_2_kernelILi256EdddPKPdEviT2_lT3_lli
    .private_segment_fixed_size: 0
    .sgpr_count:     16
    .sgpr_spill_count: 0
    .symbol:         _ZL22rocblas_sscal_2_kernelILi256EdddPKPdEviT2_lT3_lli.kd
    .uniform_work_group_size: 1
    .uses_dynamic_stack: false
    .vgpr_count:     7
    .vgpr_spill_count: 0
    .wavefront_size: 64
  - .args:
      - .offset:         0
        .size:           4
        .value_kind:     by_value
      - .address_space:  global
        .offset:         8
        .size:           8
        .value_kind:     global_buffer
      - .offset:         16
        .size:           8
        .value_kind:     by_value
      - .address_space:  global
        .offset:         24
        .size:           8
        .value_kind:     global_buffer
      - .offset:         32
        .size:           8
        .value_kind:     by_value
      - .offset:         40
        .size:           4
        .value_kind:     by_value
      - .offset:         48
        .size:           8
        .value_kind:     by_value
      - .offset:         56
        .size:           4
        .value_kind:     by_value
    .group_segment_fixed_size: 0
    .kernarg_segment_align: 8
    .kernarg_segment_size: 60
    .language:       OpenCL C
    .language_version:
      - 2
      - 0
    .max_flat_workgroup_size: 256
    .name:           _ZL19rocblas_scal_kernelIiLi256EddPKdPKPdEviT3_lT4_lT_li
    .private_segment_fixed_size: 0
    .sgpr_count:     20
    .sgpr_spill_count: 0
    .symbol:         _ZL19rocblas_scal_kernelIiLi256EddPKdPKPdEviT3_lT4_lT_li.kd
    .uniform_work_group_size: 1
    .uses_dynamic_stack: false
    .vgpr_count:     4
    .vgpr_spill_count: 0
    .wavefront_size: 64
  - .args:
      - .offset:         0
        .size:           4
        .value_kind:     by_value
      - .offset:         8
        .size:           8
        .value_kind:     by_value
      - .offset:         16
        .size:           8
        .value_kind:     by_value
      - .address_space:  global
        .offset:         24
        .size:           8
        .value_kind:     global_buffer
      - .offset:         32
        .size:           8
        .value_kind:     by_value
      - .offset:         40
        .size:           4
        .value_kind:     by_value
      - .offset:         48
        .size:           8
        .value_kind:     by_value
      - .offset:         56
        .size:           4
        .value_kind:     by_value
    .group_segment_fixed_size: 0
    .kernarg_segment_align: 8
    .kernarg_segment_size: 60
    .language:       OpenCL C
    .language_version:
      - 2
      - 0
    .max_flat_workgroup_size: 256
    .name:           _ZL19rocblas_scal_kernelIiLi256EdddPKPdEviT3_lT4_lT_li
    .private_segment_fixed_size: 0
    .sgpr_count:     16
    .sgpr_spill_count: 0
    .symbol:         _ZL19rocblas_scal_kernelIiLi256EdddPKPdEviT3_lT4_lT_li.kd
    .uniform_work_group_size: 1
    .uses_dynamic_stack: false
    .vgpr_count:     4
    .vgpr_spill_count: 0
    .wavefront_size: 64
  - .args:
      - .offset:         0
        .size:           4
        .value_kind:     by_value
      - .address_space:  global
        .offset:         8
        .size:           8
        .value_kind:     global_buffer
      - .offset:         16
        .size:           8
        .value_kind:     by_value
      - .address_space:  global
        .offset:         24
        .size:           8
        .value_kind:     global_buffer
      - .offset:         32
        .size:           8
        .value_kind:     by_value
      - .offset:         40
        .size:           8
        .value_kind:     by_value
      - .offset:         48
        .size:           8
        .value_kind:     by_value
      - .offset:         56
        .size:           4
        .value_kind:     by_value
    .group_segment_fixed_size: 0
    .kernarg_segment_align: 8
    .kernarg_segment_size: 60
    .language:       OpenCL C
    .language_version:
      - 2
      - 0
    .max_flat_workgroup_size: 256
    .name:           _ZL19rocblas_scal_kernelIlLi256EddPKdPKPdEviT3_lT4_lT_li
    .private_segment_fixed_size: 0
    .sgpr_count:     20
    .sgpr_spill_count: 0
    .symbol:         _ZL19rocblas_scal_kernelIlLi256EddPKdPKPdEviT3_lT4_lT_li.kd
    .uniform_work_group_size: 1
    .uses_dynamic_stack: false
    .vgpr_count:     4
    .vgpr_spill_count: 0
    .wavefront_size: 64
  - .args:
      - .offset:         0
        .size:           4
        .value_kind:     by_value
      - .offset:         8
        .size:           8
        .value_kind:     by_value
      - .offset:         16
        .size:           8
        .value_kind:     by_value
      - .address_space:  global
        .offset:         24
        .size:           8
        .value_kind:     global_buffer
      - .offset:         32
        .size:           8
        .value_kind:     by_value
      - .offset:         40
        .size:           8
        .value_kind:     by_value
      - .offset:         48
        .size:           8
        .value_kind:     by_value
      - .offset:         56
        .size:           4
        .value_kind:     by_value
    .group_segment_fixed_size: 0
    .kernarg_segment_align: 8
    .kernarg_segment_size: 60
    .language:       OpenCL C
    .language_version:
      - 2
      - 0
    .max_flat_workgroup_size: 256
    .name:           _ZL19rocblas_scal_kernelIlLi256EdddPKPdEviT3_lT4_lT_li
    .private_segment_fixed_size: 0
    .sgpr_count:     16
    .sgpr_spill_count: 0
    .symbol:         _ZL19rocblas_scal_kernelIlLi256EdddPKPdEviT3_lT4_lT_li.kd
    .uniform_work_group_size: 1
    .uses_dynamic_stack: false
    .vgpr_count:     4
    .vgpr_spill_count: 0
    .wavefront_size: 64
  - .args:
      - .offset:         0
        .size:           4
        .value_kind:     by_value
      - .address_space:  global
        .offset:         8
        .size:           8
        .value_kind:     global_buffer
      - .offset:         16
        .size:           8
        .value_kind:     by_value
      - .address_space:  global
        .offset:         24
        .size:           8
        .value_kind:     global_buffer
      - .offset:         32
        .size:           8
        .value_kind:     by_value
      - .offset:         40
        .size:           8
        .value_kind:     by_value
      - .offset:         48
        .size:           4
        .value_kind:     by_value
    .group_segment_fixed_size: 0
    .kernarg_segment_align: 8
    .kernarg_segment_size: 52
    .language:       OpenCL C
    .language_version:
      - 2
      - 0
    .max_flat_workgroup_size: 256
    .name:           _ZL22rocblas_sscal_2_kernelILi256E19rocblas_complex_numIfES1_PKS1_PS1_EviT2_lT3_lli
    .private_segment_fixed_size: 0
    .sgpr_count:     20
    .sgpr_spill_count: 0
    .symbol:         _ZL22rocblas_sscal_2_kernelILi256E19rocblas_complex_numIfES1_PKS1_PS1_EviT2_lT3_lli.kd
    .uniform_work_group_size: 1
    .uses_dynamic_stack: false
    .vgpr_count:     10
    .vgpr_spill_count: 0
    .wavefront_size: 64
  - .args:
      - .offset:         0
        .size:           4
        .value_kind:     by_value
      - .offset:         4
        .size:           8
        .value_kind:     by_value
      - .offset:         16
        .size:           8
        .value_kind:     by_value
      - .address_space:  global
        .offset:         24
        .size:           8
        .value_kind:     global_buffer
      - .offset:         32
        .size:           8
        .value_kind:     by_value
      - .offset:         40
        .size:           8
        .value_kind:     by_value
      - .offset:         48
        .size:           4
        .value_kind:     by_value
    .group_segment_fixed_size: 0
    .kernarg_segment_align: 8
    .kernarg_segment_size: 52
    .language:       OpenCL C
    .language_version:
      - 2
      - 0
    .max_flat_workgroup_size: 256
    .name:           _ZL22rocblas_sscal_2_kernelILi256E19rocblas_complex_numIfES1_S1_PS1_EviT2_lT3_lli
    .private_segment_fixed_size: 0
    .sgpr_count:     18
    .sgpr_spill_count: 0
    .symbol:         _ZL22rocblas_sscal_2_kernelILi256E19rocblas_complex_numIfES1_S1_PS1_EviT2_lT3_lli.kd
    .uniform_work_group_size: 1
    .uses_dynamic_stack: false
    .vgpr_count:     10
    .vgpr_spill_count: 0
    .wavefront_size: 64
  - .args:
      - .offset:         0
        .size:           4
        .value_kind:     by_value
      - .address_space:  global
        .offset:         8
        .size:           8
        .value_kind:     global_buffer
      - .offset:         16
        .size:           8
        .value_kind:     by_value
      - .address_space:  global
        .offset:         24
        .size:           8
        .value_kind:     global_buffer
      - .offset:         32
        .size:           8
        .value_kind:     by_value
      - .offset:         40
        .size:           4
        .value_kind:     by_value
      - .offset:         48
        .size:           8
        .value_kind:     by_value
      - .offset:         56
        .size:           4
        .value_kind:     by_value
    .group_segment_fixed_size: 0
    .kernarg_segment_align: 8
    .kernarg_segment_size: 60
    .language:       OpenCL C
    .language_version:
      - 2
      - 0
    .max_flat_workgroup_size: 256
    .name:           _ZL19rocblas_scal_kernelIiLi256E19rocblas_complex_numIfES1_PKS1_PS1_EviT3_lT4_lT_li
    .private_segment_fixed_size: 0
    .sgpr_count:     20
    .sgpr_spill_count: 0
    .symbol:         _ZL19rocblas_scal_kernelIiLi256E19rocblas_complex_numIfES1_PKS1_PS1_EviT3_lT4_lT_li.kd
    .uniform_work_group_size: 1
    .uses_dynamic_stack: false
    .vgpr_count:     6
    .vgpr_spill_count: 0
    .wavefront_size: 64
  - .args:
      - .offset:         0
        .size:           4
        .value_kind:     by_value
      - .offset:         4
        .size:           8
        .value_kind:     by_value
      - .offset:         16
        .size:           8
        .value_kind:     by_value
      - .address_space:  global
        .offset:         24
        .size:           8
        .value_kind:     global_buffer
      - .offset:         32
        .size:           8
        .value_kind:     by_value
      - .offset:         40
        .size:           4
        .value_kind:     by_value
      - .offset:         48
        .size:           8
        .value_kind:     by_value
      - .offset:         56
        .size:           4
        .value_kind:     by_value
    .group_segment_fixed_size: 0
    .kernarg_segment_align: 8
    .kernarg_segment_size: 60
    .language:       OpenCL C
    .language_version:
      - 2
      - 0
    .max_flat_workgroup_size: 256
    .name:           _ZL19rocblas_scal_kernelIiLi256E19rocblas_complex_numIfES1_S1_PS1_EviT3_lT4_lT_li
    .private_segment_fixed_size: 0
    .sgpr_count:     18
    .sgpr_spill_count: 0
    .symbol:         _ZL19rocblas_scal_kernelIiLi256E19rocblas_complex_numIfES1_S1_PS1_EviT3_lT4_lT_li.kd
    .uniform_work_group_size: 1
    .uses_dynamic_stack: false
    .vgpr_count:     6
    .vgpr_spill_count: 0
    .wavefront_size: 64
  - .args:
      - .offset:         0
        .size:           4
        .value_kind:     by_value
      - .address_space:  global
        .offset:         8
        .size:           8
        .value_kind:     global_buffer
      - .offset:         16
        .size:           8
        .value_kind:     by_value
      - .address_space:  global
        .offset:         24
        .size:           8
        .value_kind:     global_buffer
      - .offset:         32
        .size:           8
        .value_kind:     by_value
      - .offset:         40
        .size:           8
        .value_kind:     by_value
      - .offset:         48
        .size:           8
        .value_kind:     by_value
      - .offset:         56
        .size:           4
        .value_kind:     by_value
    .group_segment_fixed_size: 0
    .kernarg_segment_align: 8
    .kernarg_segment_size: 60
    .language:       OpenCL C
    .language_version:
      - 2
      - 0
    .max_flat_workgroup_size: 256
    .name:           _ZL19rocblas_scal_kernelIlLi256E19rocblas_complex_numIfES1_PKS1_PS1_EviT3_lT4_lT_li
    .private_segment_fixed_size: 0
    .sgpr_count:     20
    .sgpr_spill_count: 0
    .symbol:         _ZL19rocblas_scal_kernelIlLi256E19rocblas_complex_numIfES1_PKS1_PS1_EviT3_lT4_lT_li.kd
    .uniform_work_group_size: 1
    .uses_dynamic_stack: false
    .vgpr_count:     6
    .vgpr_spill_count: 0
    .wavefront_size: 64
  - .args:
      - .offset:         0
        .size:           4
        .value_kind:     by_value
      - .offset:         4
        .size:           8
        .value_kind:     by_value
      - .offset:         16
        .size:           8
        .value_kind:     by_value
      - .address_space:  global
        .offset:         24
        .size:           8
        .value_kind:     global_buffer
      - .offset:         32
        .size:           8
        .value_kind:     by_value
      - .offset:         40
        .size:           8
        .value_kind:     by_value
      - .offset:         48
        .size:           8
        .value_kind:     by_value
      - .offset:         56
        .size:           4
        .value_kind:     by_value
    .group_segment_fixed_size: 0
    .kernarg_segment_align: 8
    .kernarg_segment_size: 60
    .language:       OpenCL C
    .language_version:
      - 2
      - 0
    .max_flat_workgroup_size: 256
    .name:           _ZL19rocblas_scal_kernelIlLi256E19rocblas_complex_numIfES1_S1_PS1_EviT3_lT4_lT_li
    .private_segment_fixed_size: 0
    .sgpr_count:     20
    .sgpr_spill_count: 0
    .symbol:         _ZL19rocblas_scal_kernelIlLi256E19rocblas_complex_numIfES1_S1_PS1_EviT3_lT4_lT_li.kd
    .uniform_work_group_size: 1
    .uses_dynamic_stack: false
    .vgpr_count:     6
    .vgpr_spill_count: 0
    .wavefront_size: 64
  - .args:
      - .offset:         0
        .size:           4
        .value_kind:     by_value
      - .address_space:  global
        .offset:         8
        .size:           8
        .value_kind:     global_buffer
      - .offset:         16
        .size:           8
        .value_kind:     by_value
      - .actual_access:  read_only
        .address_space:  global
        .offset:         24
        .size:           8
        .value_kind:     global_buffer
      - .offset:         32
        .size:           8
        .value_kind:     by_value
      - .offset:         40
        .size:           8
        .value_kind:     by_value
      - .offset:         48
        .size:           4
        .value_kind:     by_value
    .group_segment_fixed_size: 0
    .kernarg_segment_align: 8
    .kernarg_segment_size: 52
    .language:       OpenCL C
    .language_version:
      - 2
      - 0
    .max_flat_workgroup_size: 256
    .name:           _ZL22rocblas_sscal_2_kernelILi256E19rocblas_complex_numIfES1_PKS1_PKPS1_EviT2_lT3_lli
    .private_segment_fixed_size: 0
    .sgpr_count:     16
    .sgpr_spill_count: 0
    .symbol:         _ZL22rocblas_sscal_2_kernelILi256E19rocblas_complex_numIfES1_PKS1_PKPS1_EviT2_lT3_lli.kd
    .uniform_work_group_size: 1
    .uses_dynamic_stack: false
    .vgpr_count:     10
    .vgpr_spill_count: 0
    .wavefront_size: 64
  - .args:
      - .offset:         0
        .size:           4
        .value_kind:     by_value
      - .offset:         4
        .size:           8
        .value_kind:     by_value
      - .offset:         16
        .size:           8
        .value_kind:     by_value
      - .actual_access:  read_only
        .address_space:  global
        .offset:         24
        .size:           8
        .value_kind:     global_buffer
      - .offset:         32
        .size:           8
        .value_kind:     by_value
      - .offset:         40
        .size:           8
        .value_kind:     by_value
      - .offset:         48
        .size:           4
        .value_kind:     by_value
    .group_segment_fixed_size: 0
    .kernarg_segment_align: 8
    .kernarg_segment_size: 52
    .language:       OpenCL C
    .language_version:
      - 2
      - 0
    .max_flat_workgroup_size: 256
    .name:           _ZL22rocblas_sscal_2_kernelILi256E19rocblas_complex_numIfES1_S1_PKPS1_EviT2_lT3_lli
    .private_segment_fixed_size: 0
    .sgpr_count:     20
    .sgpr_spill_count: 0
    .symbol:         _ZL22rocblas_sscal_2_kernelILi256E19rocblas_complex_numIfES1_S1_PKPS1_EviT2_lT3_lli.kd
    .uniform_work_group_size: 1
    .uses_dynamic_stack: false
    .vgpr_count:     10
    .vgpr_spill_count: 0
    .wavefront_size: 64
  - .args:
      - .offset:         0
        .size:           4
        .value_kind:     by_value
      - .address_space:  global
        .offset:         8
        .size:           8
        .value_kind:     global_buffer
      - .offset:         16
        .size:           8
        .value_kind:     by_value
      - .address_space:  global
        .offset:         24
        .size:           8
        .value_kind:     global_buffer
      - .offset:         32
        .size:           8
        .value_kind:     by_value
      - .offset:         40
        .size:           4
        .value_kind:     by_value
      - .offset:         48
        .size:           8
        .value_kind:     by_value
      - .offset:         56
        .size:           4
        .value_kind:     by_value
    .group_segment_fixed_size: 0
    .kernarg_segment_align: 8
    .kernarg_segment_size: 60
    .language:       OpenCL C
    .language_version:
      - 2
      - 0
    .max_flat_workgroup_size: 256
    .name:           _ZL19rocblas_scal_kernelIiLi256E19rocblas_complex_numIfES1_PKS1_PKPS1_EviT3_lT4_lT_li
    .private_segment_fixed_size: 0
    .sgpr_count:     20
    .sgpr_spill_count: 0
    .symbol:         _ZL19rocblas_scal_kernelIiLi256E19rocblas_complex_numIfES1_PKS1_PKPS1_EviT3_lT4_lT_li.kd
    .uniform_work_group_size: 1
    .uses_dynamic_stack: false
    .vgpr_count:     6
    .vgpr_spill_count: 0
    .wavefront_size: 64
  - .args:
      - .offset:         0
        .size:           4
        .value_kind:     by_value
      - .offset:         4
        .size:           8
        .value_kind:     by_value
      - .offset:         16
        .size:           8
        .value_kind:     by_value
      - .address_space:  global
        .offset:         24
        .size:           8
        .value_kind:     global_buffer
      - .offset:         32
        .size:           8
        .value_kind:     by_value
      - .offset:         40
        .size:           4
        .value_kind:     by_value
      - .offset:         48
        .size:           8
        .value_kind:     by_value
      - .offset:         56
        .size:           4
        .value_kind:     by_value
    .group_segment_fixed_size: 0
    .kernarg_segment_align: 8
    .kernarg_segment_size: 60
    .language:       OpenCL C
    .language_version:
      - 2
      - 0
    .max_flat_workgroup_size: 256
    .name:           _ZL19rocblas_scal_kernelIiLi256E19rocblas_complex_numIfES1_S1_PKPS1_EviT3_lT4_lT_li
    .private_segment_fixed_size: 0
    .sgpr_count:     20
    .sgpr_spill_count: 0
    .symbol:         _ZL19rocblas_scal_kernelIiLi256E19rocblas_complex_numIfES1_S1_PKPS1_EviT3_lT4_lT_li.kd
    .uniform_work_group_size: 1
    .uses_dynamic_stack: false
    .vgpr_count:     6
    .vgpr_spill_count: 0
    .wavefront_size: 64
  - .args:
      - .offset:         0
        .size:           4
        .value_kind:     by_value
      - .address_space:  global
        .offset:         8
        .size:           8
        .value_kind:     global_buffer
      - .offset:         16
        .size:           8
        .value_kind:     by_value
      - .address_space:  global
        .offset:         24
        .size:           8
        .value_kind:     global_buffer
      - .offset:         32
        .size:           8
        .value_kind:     by_value
      - .offset:         40
        .size:           8
        .value_kind:     by_value
      - .offset:         48
        .size:           8
        .value_kind:     by_value
      - .offset:         56
        .size:           4
        .value_kind:     by_value
    .group_segment_fixed_size: 0
    .kernarg_segment_align: 8
    .kernarg_segment_size: 60
    .language:       OpenCL C
    .language_version:
      - 2
      - 0
    .max_flat_workgroup_size: 256
    .name:           _ZL19rocblas_scal_kernelIlLi256E19rocblas_complex_numIfES1_PKS1_PKPS1_EviT3_lT4_lT_li
    .private_segment_fixed_size: 0
    .sgpr_count:     20
    .sgpr_spill_count: 0
    .symbol:         _ZL19rocblas_scal_kernelIlLi256E19rocblas_complex_numIfES1_PKS1_PKPS1_EviT3_lT4_lT_li.kd
    .uniform_work_group_size: 1
    .uses_dynamic_stack: false
    .vgpr_count:     6
    .vgpr_spill_count: 0
    .wavefront_size: 64
  - .args:
      - .offset:         0
        .size:           4
        .value_kind:     by_value
      - .offset:         4
        .size:           8
        .value_kind:     by_value
      - .offset:         16
        .size:           8
        .value_kind:     by_value
      - .address_space:  global
        .offset:         24
        .size:           8
        .value_kind:     global_buffer
      - .offset:         32
        .size:           8
        .value_kind:     by_value
      - .offset:         40
        .size:           8
        .value_kind:     by_value
      - .offset:         48
        .size:           8
        .value_kind:     by_value
      - .offset:         56
        .size:           4
        .value_kind:     by_value
    .group_segment_fixed_size: 0
    .kernarg_segment_align: 8
    .kernarg_segment_size: 60
    .language:       OpenCL C
    .language_version:
      - 2
      - 0
    .max_flat_workgroup_size: 256
    .name:           _ZL19rocblas_scal_kernelIlLi256E19rocblas_complex_numIfES1_S1_PKPS1_EviT3_lT4_lT_li
    .private_segment_fixed_size: 0
    .sgpr_count:     20
    .sgpr_spill_count: 0
    .symbol:         _ZL19rocblas_scal_kernelIlLi256E19rocblas_complex_numIfES1_S1_PKPS1_EviT3_lT4_lT_li.kd
    .uniform_work_group_size: 1
    .uses_dynamic_stack: false
    .vgpr_count:     6
    .vgpr_spill_count: 0
    .wavefront_size: 64
amdhsa.target:   amdgcn-amd-amdhsa--gfx906
amdhsa.version:
  - 1
  - 2
...

	.end_amdgpu_metadata
